;; amdgpu-corpus repo=ROCm/rocFFT kind=compiled arch=gfx950 opt=O3
	.text
	.amdgcn_target "amdgcn-amd-amdhsa--gfx950"
	.amdhsa_code_object_version 6
	.protected	fft_rtc_back_len840_factors_2_2_2_3_5_7_wgs_56_tpt_56_halfLds_sp_ip_CI_unitstride_sbrr_R2C_dirReg ; -- Begin function fft_rtc_back_len840_factors_2_2_2_3_5_7_wgs_56_tpt_56_halfLds_sp_ip_CI_unitstride_sbrr_R2C_dirReg
	.globl	fft_rtc_back_len840_factors_2_2_2_3_5_7_wgs_56_tpt_56_halfLds_sp_ip_CI_unitstride_sbrr_R2C_dirReg
	.p2align	8
	.type	fft_rtc_back_len840_factors_2_2_2_3_5_7_wgs_56_tpt_56_halfLds_sp_ip_CI_unitstride_sbrr_R2C_dirReg,@function
fft_rtc_back_len840_factors_2_2_2_3_5_7_wgs_56_tpt_56_halfLds_sp_ip_CI_unitstride_sbrr_R2C_dirReg: ; @fft_rtc_back_len840_factors_2_2_2_3_5_7_wgs_56_tpt_56_halfLds_sp_ip_CI_unitstride_sbrr_R2C_dirReg
; %bb.0:
	s_load_dwordx2 s[8:9], s[0:1], 0x50
	s_load_dwordx4 s[4:7], s[0:1], 0x0
	s_load_dwordx2 s[10:11], s[0:1], 0x18
	v_mul_u32_u24_e32 v1, 0x493, v0
	v_add_u32_sdwa v6, s2, v1 dst_sel:DWORD dst_unused:UNUSED_PAD src0_sel:DWORD src1_sel:WORD_1
	v_mov_b32_e32 v4, 0
	s_waitcnt lgkmcnt(0)
	v_cmp_lt_u64_e64 s[2:3], s[6:7], 2
	v_mov_b32_e32 v7, v4
	s_and_b64 vcc, exec, s[2:3]
	v_mov_b64_e32 v[2:3], 0
	s_cbranch_vccnz .LBB0_8
; %bb.1:
	s_load_dwordx2 s[2:3], s[0:1], 0x10
	s_add_u32 s12, s10, 8
	s_addc_u32 s13, s11, 0
	s_mov_b64 s[14:15], 1
	v_mov_b64_e32 v[2:3], 0
	s_waitcnt lgkmcnt(0)
	s_add_u32 s16, s2, 8
	s_addc_u32 s17, s3, 0
.LBB0_2:                                ; =>This Inner Loop Header: Depth=1
	s_load_dwordx2 s[18:19], s[16:17], 0x0
                                        ; implicit-def: $vgpr8_vgpr9
	s_waitcnt lgkmcnt(0)
	v_or_b32_e32 v5, s19, v7
	v_cmp_ne_u64_e32 vcc, 0, v[4:5]
	s_and_saveexec_b64 s[2:3], vcc
	s_xor_b64 s[20:21], exec, s[2:3]
	s_cbranch_execz .LBB0_4
; %bb.3:                                ;   in Loop: Header=BB0_2 Depth=1
	v_cvt_f32_u32_e32 v1, s18
	v_cvt_f32_u32_e32 v5, s19
	s_sub_u32 s2, 0, s18
	s_subb_u32 s3, 0, s19
	v_fmac_f32_e32 v1, 0x4f800000, v5
	v_rcp_f32_e32 v1, v1
	s_nop 0
	v_mul_f32_e32 v1, 0x5f7ffffc, v1
	v_mul_f32_e32 v5, 0x2f800000, v1
	v_trunc_f32_e32 v5, v5
	v_fmac_f32_e32 v1, 0xcf800000, v5
	v_cvt_u32_f32_e32 v5, v5
	v_cvt_u32_f32_e32 v1, v1
	v_mul_lo_u32 v8, s2, v5
	v_mul_hi_u32 v10, s2, v1
	v_mul_lo_u32 v9, s3, v1
	v_add_u32_e32 v10, v10, v8
	v_mul_lo_u32 v12, s2, v1
	v_add_u32_e32 v13, v10, v9
	v_mul_hi_u32 v8, v1, v12
	v_mul_hi_u32 v11, v1, v13
	v_mul_lo_u32 v10, v1, v13
	v_mov_b32_e32 v9, v4
	v_lshl_add_u64 v[8:9], v[8:9], 0, v[10:11]
	v_mul_hi_u32 v11, v5, v12
	v_mul_lo_u32 v12, v5, v12
	v_add_co_u32_e32 v8, vcc, v8, v12
	v_mul_hi_u32 v10, v5, v13
	s_nop 0
	v_addc_co_u32_e32 v8, vcc, v9, v11, vcc
	v_mov_b32_e32 v9, v4
	s_nop 0
	v_addc_co_u32_e32 v11, vcc, 0, v10, vcc
	v_mul_lo_u32 v10, v5, v13
	v_lshl_add_u64 v[8:9], v[8:9], 0, v[10:11]
	v_add_co_u32_e32 v1, vcc, v1, v8
	v_mul_lo_u32 v10, s2, v1
	s_nop 0
	v_addc_co_u32_e32 v5, vcc, v5, v9, vcc
	v_mul_lo_u32 v8, s2, v5
	v_mul_hi_u32 v9, s2, v1
	v_add_u32_e32 v8, v9, v8
	v_mul_lo_u32 v9, s3, v1
	v_add_u32_e32 v12, v8, v9
	v_mul_hi_u32 v14, v5, v10
	v_mul_lo_u32 v15, v5, v10
	v_mul_hi_u32 v9, v1, v12
	v_mul_lo_u32 v8, v1, v12
	v_mul_hi_u32 v10, v1, v10
	v_mov_b32_e32 v11, v4
	v_lshl_add_u64 v[8:9], v[10:11], 0, v[8:9]
	v_add_co_u32_e32 v8, vcc, v8, v15
	v_mul_hi_u32 v13, v5, v12
	s_nop 0
	v_addc_co_u32_e32 v8, vcc, v9, v14, vcc
	v_mul_lo_u32 v10, v5, v12
	s_nop 0
	v_addc_co_u32_e32 v11, vcc, 0, v13, vcc
	v_mov_b32_e32 v9, v4
	v_lshl_add_u64 v[8:9], v[8:9], 0, v[10:11]
	v_add_co_u32_e32 v1, vcc, v1, v8
	v_mul_hi_u32 v10, v6, v1
	s_nop 0
	v_addc_co_u32_e32 v5, vcc, v5, v9, vcc
	v_mad_u64_u32 v[8:9], s[2:3], v6, v5, 0
	v_mov_b32_e32 v11, v4
	v_lshl_add_u64 v[8:9], v[10:11], 0, v[8:9]
	v_mad_u64_u32 v[12:13], s[2:3], v7, v1, 0
	v_add_co_u32_e32 v1, vcc, v8, v12
	v_mad_u64_u32 v[10:11], s[2:3], v7, v5, 0
	s_nop 0
	v_addc_co_u32_e32 v8, vcc, v9, v13, vcc
	v_mov_b32_e32 v9, v4
	s_nop 0
	v_addc_co_u32_e32 v11, vcc, 0, v11, vcc
	v_lshl_add_u64 v[8:9], v[8:9], 0, v[10:11]
	v_mul_lo_u32 v1, s19, v8
	v_mul_lo_u32 v5, s18, v9
	v_mad_u64_u32 v[10:11], s[2:3], s18, v8, 0
	v_add3_u32 v1, v11, v5, v1
	v_sub_u32_e32 v5, v7, v1
	v_mov_b32_e32 v11, s19
	v_sub_co_u32_e32 v14, vcc, v6, v10
	v_lshl_add_u64 v[12:13], v[8:9], 0, 1
	s_nop 0
	v_subb_co_u32_e64 v5, s[2:3], v5, v11, vcc
	v_subrev_co_u32_e64 v10, s[2:3], s18, v14
	v_subb_co_u32_e32 v1, vcc, v7, v1, vcc
	s_nop 0
	v_subbrev_co_u32_e64 v5, s[2:3], 0, v5, s[2:3]
	v_cmp_le_u32_e64 s[2:3], s19, v5
	v_cmp_le_u32_e32 vcc, s19, v1
	s_nop 0
	v_cndmask_b32_e64 v11, 0, -1, s[2:3]
	v_cmp_le_u32_e64 s[2:3], s18, v10
	s_nop 1
	v_cndmask_b32_e64 v10, 0, -1, s[2:3]
	v_cmp_eq_u32_e64 s[2:3], s19, v5
	s_nop 1
	v_cndmask_b32_e64 v5, v11, v10, s[2:3]
	v_lshl_add_u64 v[10:11], v[8:9], 0, 2
	v_cmp_ne_u32_e64 s[2:3], 0, v5
	s_nop 1
	v_cndmask_b32_e64 v5, v13, v11, s[2:3]
	v_cndmask_b32_e64 v11, 0, -1, vcc
	v_cmp_le_u32_e32 vcc, s18, v14
	s_nop 1
	v_cndmask_b32_e64 v13, 0, -1, vcc
	v_cmp_eq_u32_e32 vcc, s19, v1
	s_nop 1
	v_cndmask_b32_e32 v1, v11, v13, vcc
	v_cmp_ne_u32_e32 vcc, 0, v1
	v_cndmask_b32_e64 v1, v12, v10, s[2:3]
	s_nop 0
	v_cndmask_b32_e32 v9, v9, v5, vcc
	v_cndmask_b32_e32 v8, v8, v1, vcc
.LBB0_4:                                ;   in Loop: Header=BB0_2 Depth=1
	s_andn2_saveexec_b64 s[2:3], s[20:21]
	s_cbranch_execz .LBB0_6
; %bb.5:                                ;   in Loop: Header=BB0_2 Depth=1
	v_cvt_f32_u32_e32 v1, s18
	s_sub_i32 s20, 0, s18
	v_rcp_iflag_f32_e32 v1, v1
	s_nop 0
	v_mul_f32_e32 v1, 0x4f7ffffe, v1
	v_cvt_u32_f32_e32 v1, v1
	v_mul_lo_u32 v5, s20, v1
	v_mul_hi_u32 v5, v1, v5
	v_add_u32_e32 v1, v1, v5
	v_mul_hi_u32 v1, v6, v1
	v_mul_lo_u32 v5, v1, s18
	v_sub_u32_e32 v5, v6, v5
	v_add_u32_e32 v8, 1, v1
	v_subrev_u32_e32 v9, s18, v5
	v_cmp_le_u32_e32 vcc, s18, v5
	s_nop 1
	v_cndmask_b32_e32 v5, v5, v9, vcc
	v_cndmask_b32_e32 v1, v1, v8, vcc
	v_add_u32_e32 v8, 1, v1
	v_cmp_le_u32_e32 vcc, s18, v5
	v_mov_b32_e32 v9, v4
	s_nop 0
	v_cndmask_b32_e32 v8, v1, v8, vcc
.LBB0_6:                                ;   in Loop: Header=BB0_2 Depth=1
	s_or_b64 exec, exec, s[2:3]
	v_mad_u64_u32 v[10:11], s[2:3], v8, s18, 0
	s_load_dwordx2 s[2:3], s[12:13], 0x0
	v_mul_lo_u32 v1, v9, s18
	v_mul_lo_u32 v5, v8, s19
	v_add3_u32 v1, v11, v5, v1
	v_sub_co_u32_e32 v5, vcc, v6, v10
	s_add_u32 s14, s14, 1
	s_nop 0
	v_subb_co_u32_e32 v1, vcc, v7, v1, vcc
	s_addc_u32 s15, s15, 0
	s_waitcnt lgkmcnt(0)
	v_mul_lo_u32 v1, s2, v1
	v_mul_lo_u32 v6, s3, v5
	v_mad_u64_u32 v[2:3], s[2:3], s2, v5, v[2:3]
	s_add_u32 s12, s12, 8
	v_add3_u32 v3, v6, v3, v1
	s_addc_u32 s13, s13, 0
	v_mov_b64_e32 v[6:7], s[6:7]
	s_add_u32 s16, s16, 8
	v_cmp_ge_u64_e32 vcc, s[14:15], v[6:7]
	s_addc_u32 s17, s17, 0
	s_cbranch_vccnz .LBB0_9
; %bb.7:                                ;   in Loop: Header=BB0_2 Depth=1
	v_mov_b64_e32 v[6:7], v[8:9]
	s_branch .LBB0_2
.LBB0_8:
	v_mov_b64_e32 v[8:9], v[6:7]
.LBB0_9:
	s_lshl_b64 s[2:3], s[6:7], 3
	s_add_u32 s2, s10, s2
	s_addc_u32 s3, s11, s3
	s_load_dwordx2 s[6:7], s[2:3], 0x0
	s_load_dwordx2 s[10:11], s[0:1], 0x20
	s_mov_b32 s2, 0x4924925
                                        ; implicit-def: $vgpr60
                                        ; implicit-def: $vgpr58
                                        ; implicit-def: $vgpr56
                                        ; implicit-def: $vgpr54
                                        ; implicit-def: $vgpr52
                                        ; implicit-def: $vgpr50
	s_waitcnt lgkmcnt(0)
	v_mul_lo_u32 v1, s6, v9
	v_mul_lo_u32 v4, s7, v8
	v_mad_u64_u32 v[2:3], s[0:1], s6, v8, v[2:3]
	v_add3_u32 v3, v4, v3, v1
	v_mul_hi_u32 v1, v0, s2
	v_mul_u32_u24_e32 v1, 56, v1
	v_sub_u32_e32 v44, v0, v1
	v_cmp_gt_u64_e64 s[0:1], s[10:11], v[8:9]
	v_cmp_le_u64_e32 vcc, s[10:11], v[8:9]
	v_add_u32_e32 v48, 56, v44
	s_and_saveexec_b64 s[2:3], vcc
	s_xor_b64 s[2:3], exec, s[2:3]
; %bb.10:
	v_add_u32_e32 v48, 56, v44
	v_add_u32_e32 v60, 0x70, v44
	;; [unrolled: 1-line block ×7, first 2 shown]
; %bb.11:
	s_or_saveexec_b64 s[2:3], s[2:3]
	v_lshl_add_u64 v[46:47], v[2:3], 3, s[8:9]
	s_xor_b64 exec, exec, s[2:3]
	s_cbranch_execz .LBB0_13
; %bb.12:
	v_mov_b32_e32 v45, 0
	v_lshl_add_u64 v[0:1], v[44:45], 3, v[46:47]
	v_add_co_u32_e32 v18, vcc, 0x1000, v0
	global_load_dwordx2 v[2:3], v[0:1], off
	global_load_dwordx2 v[4:5], v[0:1], off offset:448
	global_load_dwordx2 v[6:7], v[0:1], off offset:896
	;; [unrolled: 1-line block ×7, first 2 shown]
	v_addc_co_u32_e32 v19, vcc, 0, v1, vcc
	global_load_dwordx2 v[20:21], v[0:1], off offset:3584
	global_load_dwordx2 v[22:23], v[0:1], off offset:4032
	;; [unrolled: 1-line block ×7, first 2 shown]
	v_lshl_add_u32 v0, v44, 3, 0
	v_add_u32_e32 v60, 0x70, v44
	v_add_u32_e32 v58, 0xa8, v44
	;; [unrolled: 1-line block ×9, first 2 shown]
	s_waitcnt vmcnt(13)
	ds_write2_b64 v0, v[2:3], v[4:5] offset1:56
	s_waitcnt vmcnt(11)
	ds_write2_b64 v0, v[6:7], v[8:9] offset0:112 offset1:168
	s_waitcnt vmcnt(9)
	ds_write2_b64 v1, v[10:11], v[12:13] offset0:96 offset1:152
	;; [unrolled: 2-line block ×6, first 2 shown]
	s_waitcnt vmcnt(0)
	ds_write_b64 v0, v[32:33] offset:6272
.LBB0_13:
	s_or_b64 exec, exec, s[2:3]
	v_lshlrev_b32_e32 v45, 3, v44
	v_add_u32_e32 v80, 0, v45
	v_add_u32_e32 v0, 0x800, v80
	;; [unrolled: 1-line block ×3, first 2 shown]
	s_waitcnt lgkmcnt(0)
	; wave barrier
	s_waitcnt lgkmcnt(0)
	ds_read2_b64 v[2:5], v0 offset0:80 offset1:136
	ds_read2_b64 v[6:9], v1 offset0:116 offset1:172
	v_add_u32_e32 v1, v80, v45
	v_lshl_add_u32 v35, v48, 4, 0
	v_lshl_add_u32 v34, v60, 4, 0
	;; [unrolled: 1-line block ×3, first 2 shown]
	s_waitcnt lgkmcnt(0)
	v_pk_add_f32 v[14:15], v[4:5], v[8:9] neg_lo:[0,1] neg_hi:[0,1]
	v_add_u32_e32 v8, 0x1000, v80
	v_pk_fma_f32 v[12:13], v[4:5], 2.0, v[14:15] op_sel_hi:[1,0,1] neg_lo:[0,0,1] neg_hi:[0,0,1]
	v_add_u32_e32 v4, 0x400, v80
	ds_read2_b64 v[16:19], v4 offset0:96 offset1:152
	ds_read2_b64 v[20:23], v8 offset0:132 offset1:188
	v_pk_add_f32 v[6:7], v[2:3], v[6:7] neg_lo:[0,1] neg_hi:[0,1]
	v_lshl_add_u32 v32, v56, 4, 0
	v_pk_fma_f32 v[10:11], v[2:3], 2.0, v[6:7] op_sel_hi:[1,0,1] neg_lo:[0,0,1] neg_hi:[0,0,1]
	v_lshl_add_u32 v40, v54, 4, 0
	s_waitcnt lgkmcnt(0)
	v_pk_add_f32 v[30:31], v[18:19], v[22:23] neg_lo:[0,1] neg_hi:[0,1]
	v_pk_add_f32 v[20:21], v[16:17], v[20:21] neg_lo:[0,1] neg_hi:[0,1]
	v_pk_fma_f32 v[38:39], v[18:19], 2.0, v[30:31] op_sel_hi:[1,0,1] neg_lo:[0,0,1] neg_hi:[0,0,1]
	ds_read2_b64 v[2:5], v80 offset0:112 offset1:168
	ds_read2_b64 v[22:25], v8 offset0:20 offset1:76
	v_pk_fma_f32 v[42:43], v[16:17], 2.0, v[20:21] op_sel_hi:[1,0,1] neg_lo:[0,0,1] neg_hi:[0,0,1]
	ds_read2_b64 v[16:19], v80 offset1:56
	ds_read2_b64 v[26:29], v0 offset0:164 offset1:220
	v_lshl_add_u32 v36, v52, 4, 0
	v_cmp_gt_u32_e32 vcc, 28, v44
	s_waitcnt lgkmcnt(2)
	v_pk_add_f32 v[24:25], v[4:5], v[24:25] neg_lo:[0,1] neg_hi:[0,1]
	v_pk_add_f32 v[22:23], v[2:3], v[22:23] neg_lo:[0,1] neg_hi:[0,1]
	s_waitcnt lgkmcnt(0)
	v_pk_add_f32 v[26:27], v[16:17], v[26:27] neg_lo:[0,1] neg_hi:[0,1]
	v_pk_add_f32 v[28:29], v[18:19], v[28:29] neg_lo:[0,1] neg_hi:[0,1]
	v_pk_fma_f32 v[16:17], v[16:17], 2.0, v[26:27] op_sel_hi:[1,0,1] neg_lo:[0,0,1] neg_hi:[0,0,1]
	v_pk_fma_f32 v[4:5], v[4:5], 2.0, v[24:25] op_sel_hi:[1,0,1] neg_lo:[0,0,1] neg_hi:[0,0,1]
	;; [unrolled: 1-line block ×4, first 2 shown]
	s_waitcnt lgkmcnt(0)
	; wave barrier
	ds_write2_b64 v1, v[16:17], v[26:27] offset1:1
	ds_write2_b64 v35, v[18:19], v[28:29] offset1:1
	;; [unrolled: 1-line block ×7, first 2 shown]
	s_and_saveexec_b64 s[2:3], vcc
	s_cbranch_execz .LBB0_15
; %bb.14:
	v_lshl_add_u32 v1, v50, 4, 0
	ds_write2_b64 v1, v[12:13], v[14:15] offset1:1
.LBB0_15:
	s_or_b64 exec, exec, s[2:3]
	v_lshlrev_b32_e32 v49, 3, v48
	v_lshlrev_b32_e32 v53, 3, v60
	;; [unrolled: 1-line block ×6, first 2 shown]
	v_sub_u32_e32 v28, v35, v49
	v_sub_u32_e32 v26, v34, v53
	;; [unrolled: 1-line block ×6, first 2 shown]
	s_waitcnt lgkmcnt(0)
	; wave barrier
	s_waitcnt lgkmcnt(0)
	ds_read_b64 v[16:17], v80
	ds_read2_b64 v[0:3], v0 offset0:164 offset1:220
	ds_read2_b64 v[4:7], v8 offset0:20 offset1:76
	ds_read2_b64 v[8:11], v8 offset0:132 offset1:188
	ds_read_b64 v[18:19], v18
	ds_read_b64 v[20:21], v20
	;; [unrolled: 1-line block ×6, first 2 shown]
	ds_read_b64 v[30:31], v80 offset:6048
	v_lshlrev_b32_e32 v37, 1, v48
	v_lshlrev_b32_e32 v38, 1, v60
	v_lshlrev_b32_e32 v39, 1, v58
	v_lshlrev_b32_e32 v42, 1, v56
	v_lshlrev_b32_e32 v43, 1, v54
	v_lshlrev_b32_e32 v41, 1, v52
	v_lshl_add_u32 v81, v50, 3, 0
	s_and_saveexec_b64 s[2:3], vcc
	s_cbranch_execz .LBB0_17
; %bb.16:
	ds_read_b64 v[12:13], v81
	ds_read_b64 v[14:15], v80 offset:6496
.LBB0_17:
	s_or_b64 exec, exec, s[2:3]
	v_and_b32_e32 v51, 1, v44
	v_lshlrev_b32_e32 v62, 3, v51
	global_load_dwordx2 v[66:67], v62, s[4:5]
	s_movk_i32 s7, 0x3fc
	s_movk_i32 s8, 0x2fc
	;; [unrolled: 1-line block ×3, first 2 shown]
	v_and_or_b32 v70, v42, s7, v51
	v_and_or_b32 v71, v43, s8, v51
	s_waitcnt lgkmcnt(0)
	v_mov_b32_e32 v68, v15
	v_and_or_b32 v69, v39, s6, v51
	v_and_or_b32 v72, v41, s7, v51
	v_lshl_add_u32 v89, v70, 3, 0
	v_lshl_add_u32 v90, v71, 3, 0
	;; [unrolled: 1-line block ×4, first 2 shown]
	v_sub_u32_e32 v64, 0, v53
	v_lshlrev_b32_e32 v53, 1, v44
	s_movk_i32 s2, 0x7c
	v_sub_u32_e32 v65, 0, v49
	s_movk_i32 s3, 0xfc
	v_and_or_b32 v49, v53, s2, v51
	v_sub_u32_e32 v63, 0, v55
	v_sub_u32_e32 v62, 0, v57
	v_sub_u32_e32 v57, 0, v59
	v_sub_u32_e32 v55, 0, v61
	v_and_or_b32 v59, v37, s3, v51
	v_and_or_b32 v61, v38, s6, v51
	v_lshl_add_u32 v49, v49, 3, 0
	s_waitcnt lgkmcnt(0)
	; wave barrier
	v_lshl_add_u32 v59, v59, 3, 0
	v_lshl_add_u32 v61, v61, 3, 0
	s_waitcnt vmcnt(0)
	v_pk_mul_f32 v[70:71], v[66:67], v[0:1] op_sel:[0,1]
	v_pk_mul_f32 v[72:73], v[66:67], v[2:3] op_sel:[0,1]
	;; [unrolled: 1-line block ×6, first 2 shown]
	v_pk_mul_f32 v[68:69], v[68:69], v[66:67] op_sel_hi:[0,1]
	v_pk_mul_f32 v[84:85], v[66:67], v[30:31] op_sel:[0,1]
	v_pk_fma_f32 v[86:87], v[66:67], v[0:1], v[70:71] op_sel:[0,0,1] op_sel_hi:[1,1,0]
	v_pk_fma_f32 v[0:1], v[66:67], v[0:1], v[70:71] op_sel:[0,0,1] op_sel_hi:[1,0,0] neg_lo:[1,0,0] neg_hi:[1,0,0]
	v_pk_fma_f32 v[70:71], v[66:67], v[2:3], v[72:73] op_sel:[0,0,1] op_sel_hi:[1,1,0]
	v_pk_fma_f32 v[2:3], v[66:67], v[2:3], v[72:73] op_sel:[0,0,1] op_sel_hi:[1,0,0] neg_lo:[1,0,0] neg_hi:[1,0,0]
	;; [unrolled: 2-line block ×8, first 2 shown]
	v_mov_b32_e32 v87, v1
	v_mov_b32_e32 v83, v15
	v_mov_b32_e32 v71, v3
	v_mov_b32_e32 v73, v5
	v_mov_b32_e32 v75, v7
	v_mov_b32_e32 v77, v9
	v_mov_b32_e32 v79, v11
	v_mov_b32_e32 v69, v31
	v_pk_add_f32 v[0:1], v[16:17], v[86:87] neg_lo:[0,1] neg_hi:[0,1]
	v_pk_add_f32 v[14:15], v[12:13], v[82:83] neg_lo:[0,1] neg_hi:[0,1]
	;; [unrolled: 1-line block ×8, first 2 shown]
	v_pk_fma_f32 v[16:17], v[16:17], 2.0, v[0:1] op_sel_hi:[1,0,1] neg_lo:[0,0,1] neg_hi:[0,0,1]
	v_pk_fma_f32 v[12:13], v[12:13], 2.0, v[14:15] op_sel_hi:[1,0,1] neg_lo:[0,0,1] neg_hi:[0,0,1]
	;; [unrolled: 1-line block ×8, first 2 shown]
	ds_write2_b64 v49, v[16:17], v[0:1] offset1:2
	ds_write2_b64 v59, v[28:29], v[2:3] offset1:2
	;; [unrolled: 1-line block ×7, first 2 shown]
	v_lshlrev_b32_e32 v49, 1, v50
	s_and_saveexec_b64 s[2:3], vcc
	s_cbranch_execz .LBB0_19
; %bb.18:
	s_movk_i32 s6, 0x37c
	v_and_or_b32 v0, v49, s6, v51
	v_lshl_add_u32 v0, v0, 3, 0
	ds_write2_b64 v0, v[12:13], v[14:15] offset1:2
.LBB0_19:
	s_or_b64 exec, exec, s[2:3]
	v_add_u32_e32 v0, 0x800, v80
	v_add_u32_e32 v85, v34, v64
	;; [unrolled: 1-line block ×4, first 2 shown]
	s_waitcnt lgkmcnt(0)
	; wave barrier
	s_waitcnt lgkmcnt(0)
	ds_read_b64 v[16:17], v80
	ds_read_b64 v[18:19], v85
	ds_read2_b64 v[0:3], v0 offset0:164 offset1:220
	v_add_u32_e32 v86, v35, v65
	ds_read2_b64 v[4:7], v8 offset0:20 offset1:76
	v_add_u32_e32 v83, v32, v62
	ds_read2_b64 v[8:11], v8 offset0:132 offset1:188
	v_add_u32_e32 v82, v40, v57
	v_add_u32_e32 v51, v36, v55
	ds_read_b64 v[20:21], v84
	ds_read_b64 v[22:23], v83
	;; [unrolled: 1-line block ×5, first 2 shown]
	ds_read_b64 v[30:31], v80 offset:6048
	s_and_saveexec_b64 s[2:3], vcc
	s_cbranch_execz .LBB0_21
; %bb.20:
	ds_read_b64 v[12:13], v81
	ds_read_b64 v[14:15], v80 offset:6496
.LBB0_21:
	s_or_b64 exec, exec, s[2:3]
	v_and_b32_e32 v32, 3, v44
	v_lshlrev_b32_e32 v33, 3, v32
	global_load_dwordx2 v[34:35], v33, s[4:5] offset:16
	s_movk_i32 s3, 0xf8
	s_movk_i32 s6, 0x1f8
	s_movk_i32 s7, 0x3f8
	s_waitcnt lgkmcnt(0)
	v_mov_b32_e32 v36, v15
	s_movk_i32 s2, 0x78
	s_movk_i32 s8, 0x2f8
	v_and_or_b32 v33, v37, s3, v32
	v_and_or_b32 v37, v38, s6, v32
	;; [unrolled: 1-line block ×7, first 2 shown]
	v_lshl_add_u32 v55, v37, 3, 0
	v_lshl_add_u32 v57, v38, 3, 0
	v_lshl_add_u32 v59, v39, 3, 0
	v_lshl_add_u32 v53, v15, 3, 0
	v_lshl_add_u32 v61, v40, 3, 0
	v_lshl_add_u32 v72, v41, 3, 0
	s_waitcnt lgkmcnt(0)
	; wave barrier
	v_lshl_add_u32 v33, v33, 3, 0
	s_waitcnt vmcnt(0)
	v_pk_mul_f32 v[36:37], v[36:37], v[34:35] op_sel_hi:[0,1]
	v_pk_mul_f32 v[38:39], v[34:35], v[0:1] op_sel:[0,1]
	v_pk_mul_f32 v[40:41], v[34:35], v[2:3] op_sel:[0,1]
	;; [unrolled: 1-line block ×7, first 2 shown]
	v_pk_fma_f32 v[70:71], v[14:15], v[34:35], v[36:37] op_sel:[0,0,1] op_sel_hi:[1,1,0]
	v_pk_fma_f32 v[14:15], v[14:15], v[34:35], v[36:37] op_sel:[0,0,1] op_sel_hi:[0,1,0] neg_lo:[1,0,0] neg_hi:[1,0,0]
	v_pk_fma_f32 v[36:37], v[34:35], v[0:1], v[38:39] op_sel:[0,0,1] op_sel_hi:[1,1,0]
	v_pk_fma_f32 v[0:1], v[34:35], v[0:1], v[38:39] op_sel:[0,0,1] op_sel_hi:[1,0,0] neg_lo:[1,0,0] neg_hi:[1,0,0]
	v_pk_fma_f32 v[38:39], v[34:35], v[2:3], v[40:41] op_sel:[0,0,1] op_sel_hi:[1,1,0]
	v_pk_fma_f32 v[2:3], v[34:35], v[2:3], v[40:41] op_sel:[0,0,1] op_sel_hi:[1,0,0] neg_lo:[1,0,0] neg_hi:[1,0,0]
	v_pk_fma_f32 v[40:41], v[34:35], v[4:5], v[42:43] op_sel:[0,0,1] op_sel_hi:[1,1,0]
	v_pk_fma_f32 v[4:5], v[34:35], v[4:5], v[42:43] op_sel:[0,0,1] op_sel_hi:[1,0,0] neg_lo:[1,0,0] neg_hi:[1,0,0]
	v_pk_fma_f32 v[42:43], v[34:35], v[6:7], v[62:63] op_sel:[0,0,1] op_sel_hi:[1,1,0]
	v_pk_fma_f32 v[6:7], v[34:35], v[6:7], v[62:63] op_sel:[0,0,1] op_sel_hi:[1,0,0] neg_lo:[1,0,0] neg_hi:[1,0,0]
	v_pk_fma_f32 v[62:63], v[34:35], v[8:9], v[64:65] op_sel:[0,0,1] op_sel_hi:[1,1,0]
	v_pk_fma_f32 v[8:9], v[34:35], v[8:9], v[64:65] op_sel:[0,0,1] op_sel_hi:[1,0,0] neg_lo:[1,0,0] neg_hi:[1,0,0]
	v_pk_fma_f32 v[64:65], v[34:35], v[10:11], v[66:67] op_sel:[0,0,1] op_sel_hi:[1,1,0]
	v_pk_fma_f32 v[10:11], v[34:35], v[10:11], v[66:67] op_sel:[0,0,1] op_sel_hi:[1,0,0] neg_lo:[1,0,0] neg_hi:[1,0,0]
	v_pk_fma_f32 v[66:67], v[34:35], v[30:31], v[68:69] op_sel:[0,0,1] op_sel_hi:[1,1,0]
	v_pk_fma_f32 v[30:31], v[34:35], v[30:31], v[68:69] op_sel:[0,0,1] op_sel_hi:[1,0,0] neg_lo:[1,0,0] neg_hi:[1,0,0]
	v_mov_b32_e32 v37, v1
	v_mov_b32_e32 v71, v15
	;; [unrolled: 1-line block ×8, first 2 shown]
	v_pk_add_f32 v[2:3], v[16:17], v[36:37] neg_lo:[0,1] neg_hi:[0,1]
	v_pk_add_f32 v[0:1], v[12:13], v[70:71] neg_lo:[0,1] neg_hi:[0,1]
	;; [unrolled: 1-line block ×8, first 2 shown]
	v_pk_fma_f32 v[16:17], v[16:17], 2.0, v[2:3] op_sel_hi:[1,0,1] neg_lo:[0,0,1] neg_hi:[0,0,1]
	v_pk_fma_f32 v[28:29], v[28:29], 2.0, v[4:5] op_sel_hi:[1,0,1] neg_lo:[0,0,1] neg_hi:[0,0,1]
	;; [unrolled: 1-line block ×7, first 2 shown]
	ds_write2_b64 v53, v[16:17], v[2:3] offset1:4
	ds_write2_b64 v33, v[28:29], v[4:5] offset1:4
	;; [unrolled: 1-line block ×7, first 2 shown]
	s_and_saveexec_b64 s[2:3], vcc
	s_cbranch_execz .LBB0_23
; %bb.22:
	s_movk_i32 s6, 0x378
	v_and_or_b32 v2, v49, s6, v32
	v_lshl_add_u32 v4, v2, 3, 0
	v_pk_fma_f32 v[2:3], v[12:13], 2.0, v[0:1] op_sel_hi:[1,0,1] neg_lo:[0,0,1] neg_hi:[0,0,1]
	ds_write2_b64 v4, v[2:3], v[0:1] offset1:4
.LBB0_23:
	s_or_b64 exec, exec, s[2:3]
	v_and_b32_e32 v36, 7, v44
	v_lshlrev_b32_e32 v2, 4, v36
	s_waitcnt lgkmcnt(0)
	; wave barrier
	s_waitcnt lgkmcnt(0)
	global_load_dwordx4 v[2:5], v2, s[4:5] offset:48
	v_add_u32_e32 v49, 0x800, v80
	v_lshrrev_b32_e32 v18, 3, v44
	v_lshrrev_b32_e32 v19, 3, v48
	;; [unrolled: 1-line block ×4, first 2 shown]
	v_add_u32_e32 v53, 0x1000, v80
	ds_read_b64 v[22:23], v82
	ds_read_b64 v[24:25], v83
	;; [unrolled: 1-line block ×5, first 2 shown]
	ds_read_b64 v[32:33], v80 offset:6272
	ds_read_b64 v[34:35], v80
	ds_read2_b64 v[6:9], v53 offset0:48 offset1:104
	ds_read2_b64 v[10:13], v49 offset0:80 offset1:136
	;; [unrolled: 1-line block ×3, first 2 shown]
	v_mul_u32_u24_e32 v38, 24, v18
	v_mul_lo_u32 v39, v19, 24
	v_mul_lo_u32 v40, v20, 24
	;; [unrolled: 1-line block ×3, first 2 shown]
	ds_read2_b64 v[18:21], v49 offset0:192 offset1:248
	v_lshrrev_b32_e32 v37, 3, v56
	v_mul_lo_u32 v37, v37, 24
	v_or_b32_e32 v38, v38, v36
	v_or_b32_e32 v39, v39, v36
	;; [unrolled: 1-line block ×5, first 2 shown]
	v_lshl_add_u32 v59, v40, 3, 0
	v_lshl_add_u32 v61, v41, 3, 0
	;; [unrolled: 1-line block ×5, first 2 shown]
	s_mov_b32 s2, 0x3f5db3d7
	s_waitcnt lgkmcnt(0)
	; wave barrier
	s_waitcnt lgkmcnt(0)
	s_mov_b32 s8, 0x3f737871
	s_mov_b32 s6, 0x3f167918
	s_waitcnt vmcnt(0)
	v_pk_mul_f32 v[36:37], v[2:3], v[12:13] op_sel:[0,1]
	v_pk_mul_f32 v[40:41], v[20:21], v[2:3] op_sel:[0,1]
	;; [unrolled: 1-line block ×6, first 2 shown]
	v_pk_fma_f32 v[70:71], v[20:21], v[2:3], v[40:41] op_sel:[0,0,1] op_sel_hi:[1,1,0]
	v_pk_fma_f32 v[20:21], v[20:21], v[2:3], v[40:41] op_sel:[0,0,1] op_sel_hi:[1,0,0] neg_lo:[0,0,1] neg_hi:[0,0,1]
	v_pk_fma_f32 v[40:41], v[18:19], v[2:3], v[62:63] op_sel:[0,0,1] op_sel_hi:[1,1,0]
	v_pk_fma_f32 v[18:19], v[18:19], v[2:3], v[62:63] op_sel:[0,0,1] op_sel_hi:[1,0,0] neg_lo:[0,0,1] neg_hi:[0,0,1]
	;; [unrolled: 2-line block ×6, first 2 shown]
	v_pk_mul_f32 v[38:39], v[4:5], v[14:15] op_sel:[0,1]
	v_mov_b32_e32 v67, v3
	v_pk_mul_f32 v[2:3], v[4:5], v[6:7] op_sel:[0,1]
	v_mov_b32_e32 v42, v5
	v_pk_fma_f32 v[22:23], v[4:5], v[6:7], v[2:3] op_sel:[0,0,1] op_sel_hi:[1,1,0]
	v_pk_fma_f32 v[2:3], v[4:5], v[6:7], v[2:3] op_sel:[0,0,1] op_sel_hi:[1,0,0] neg_lo:[1,0,0] neg_hi:[1,0,0]
	v_pk_fma_f32 v[64:65], v[4:5], v[14:15], v[38:39] op_sel:[0,0,1] op_sel_hi:[1,1,0]
	v_pk_fma_f32 v[14:15], v[4:5], v[14:15], v[38:39] op_sel:[0,0,1] op_sel_hi:[1,0,0] neg_lo:[1,0,0] neg_hi:[1,0,0]
	v_pk_mul_f32 v[38:39], v[32:33], v[42:43] op_sel_hi:[1,0]
	v_pk_mul_f32 v[42:43], v[16:17], v[42:43] op_sel_hi:[1,0]
	v_mov_b32_e32 v23, v3
	v_mov_b32_e32 v63, v13
	;; [unrolled: 1-line block ×3, first 2 shown]
	v_pk_fma_f32 v[12:13], v[32:33], v[4:5], v[38:39] op_sel:[0,0,1] op_sel_hi:[1,1,0]
	v_pk_fma_f32 v[14:15], v[32:33], v[4:5], v[38:39] op_sel:[0,0,1] op_sel_hi:[1,0,0] neg_lo:[0,0,1] neg_hi:[0,0,1]
	v_mov_b32_e32 v41, v19
	v_pk_fma_f32 v[18:19], v[16:17], v[4:5], v[42:43] op_sel:[0,0,1] op_sel_hi:[1,1,0]
	v_pk_fma_f32 v[16:17], v[16:17], v[4:5], v[42:43] op_sel:[0,0,1] op_sel_hi:[1,0,0] neg_lo:[0,0,1] neg_hi:[0,0,1]
	v_mov_b32_e32 v37, v11
	v_mov_b32_e32 v73, v9
	v_pk_add_f32 v[4:5], v[66:67], v[22:23]
	v_pk_add_f32 v[6:7], v[66:67], v[22:23] neg_lo:[0,1] neg_hi:[0,1]
	v_mov_b32_e32 v71, v21
	v_pk_add_f32 v[20:21], v[36:37], v[72:73]
	v_pk_add_f32 v[32:33], v[36:37], v[72:73] neg_lo:[0,1] neg_hi:[0,1]
	v_pk_add_f32 v[2:3], v[34:35], v[66:67]
	v_pk_fma_f32 v[4:5], v[4:5], 0.5, v[34:35] op_sel_hi:[1,0,1] neg_lo:[1,0,0] neg_hi:[1,0,0]
	v_pk_mul_f32 v[6:7], v[6:7], s[2:3] op_sel_hi:[1,0]
	v_mov_b32_e32 v19, v17
	v_pk_add_f32 v[16:17], v[30:31], v[36:37]
	v_pk_fma_f32 v[20:21], v[20:21], 0.5, v[30:31] op_sel_hi:[1,0,1] neg_lo:[1,0,0] neg_hi:[1,0,0]
	v_pk_mul_f32 v[30:31], v[32:33], s[2:3] op_sel_hi:[1,0]
	v_pk_add_f32 v[2:3], v[2:3], v[22:23]
	v_pk_add_f32 v[22:23], v[4:5], v[6:7] op_sel:[0,1] op_sel_hi:[1,0] neg_lo:[0,1] neg_hi:[0,1]
	v_pk_add_f32 v[4:5], v[4:5], v[6:7] op_sel:[0,1] op_sel_hi:[1,0]
	v_pk_add_f32 v[32:33], v[20:21], v[30:31] op_sel:[0,1] op_sel_hi:[1,0] neg_lo:[0,1] neg_hi:[0,1]
	v_pk_add_f32 v[20:21], v[20:21], v[30:31] op_sel:[0,1] op_sel_hi:[1,0]
	v_mov_b32_e32 v6, v22
	v_mov_b32_e32 v7, v5
	v_pk_add_f32 v[16:17], v[16:17], v[72:73]
	ds_write2_b64 v55, v[2:3], v[6:7] offset1:8
	v_mov_b32_e32 v5, v23
	v_mov_b32_e32 v2, v32
	;; [unrolled: 1-line block ×3, first 2 shown]
	ds_write_b64 v55, v[4:5] offset:128
	ds_write2_b64 v57, v[16:17], v[2:3] offset1:8
	v_pk_add_f32 v[2:3], v[62:63], v[64:65]
	v_pk_add_f32 v[4:5], v[62:63], v[64:65] neg_lo:[0,1] neg_hi:[0,1]
	v_pk_fma_f32 v[2:3], v[2:3], 0.5, v[28:29] op_sel_hi:[1,0,1] neg_lo:[1,0,0] neg_hi:[1,0,0]
	v_pk_mul_f32 v[4:5], v[4:5], s[2:3] op_sel_hi:[1,0]
	v_pk_add_f32 v[8:9], v[28:29], v[62:63]
	v_pk_add_f32 v[6:7], v[2:3], v[4:5] op_sel:[0,1] op_sel_hi:[1,0] neg_lo:[0,1] neg_hi:[0,1]
	v_pk_add_f32 v[2:3], v[2:3], v[4:5] op_sel:[0,1] op_sel_hi:[1,0]
	v_pk_add_f32 v[8:9], v[8:9], v[64:65]
	v_mov_b32_e32 v21, v33
	v_mov_b32_e32 v4, v6
	v_mov_b32_e32 v5, v3
	v_mov_b32_e32 v3, v7
	ds_write_b64 v57, v[20:21] offset:128
	ds_write2_b64 v59, v[8:9], v[4:5] offset1:8
	ds_write_b64 v59, v[2:3] offset:128
	v_pk_add_f32 v[2:3], v[40:41], v[18:19]
	v_pk_add_f32 v[4:5], v[40:41], v[18:19] neg_lo:[0,1] neg_hi:[0,1]
	v_pk_fma_f32 v[2:3], v[2:3], 0.5, v[26:27] op_sel_hi:[1,0,1] neg_lo:[1,0,0] neg_hi:[1,0,0]
	v_pk_mul_f32 v[4:5], v[4:5], s[2:3] op_sel_hi:[1,0]
	v_mov_b32_e32 v13, v15
	v_pk_add_f32 v[14:15], v[26:27], v[40:41]
	v_pk_add_f32 v[6:7], v[2:3], v[4:5] op_sel:[0,1] op_sel_hi:[1,0] neg_lo:[0,1] neg_hi:[0,1]
	v_pk_add_f32 v[2:3], v[2:3], v[4:5] op_sel:[0,1] op_sel_hi:[1,0]
	v_pk_add_f32 v[14:15], v[14:15], v[18:19]
	v_mov_b32_e32 v4, v6
	v_mov_b32_e32 v5, v3
	;; [unrolled: 1-line block ×3, first 2 shown]
	ds_write2_b64 v61, v[14:15], v[4:5] offset1:8
	ds_write_b64 v61, v[2:3] offset:128
	v_pk_add_f32 v[2:3], v[70:71], v[12:13]
	v_pk_add_f32 v[4:5], v[70:71], v[12:13] neg_lo:[0,1] neg_hi:[0,1]
	v_pk_fma_f32 v[2:3], v[2:3], 0.5, v[24:25] op_sel_hi:[1,0,1] neg_lo:[1,0,0] neg_hi:[1,0,0]
	v_pk_mul_f32 v[4:5], v[4:5], s[2:3] op_sel_hi:[1,0]
	s_movk_i32 s2, 0xab
	v_pk_add_f32 v[6:7], v[2:3], v[4:5] op_sel:[0,1] op_sel_hi:[1,0] neg_lo:[0,1] neg_hi:[0,1]
	v_pk_add_f32 v[2:3], v[2:3], v[4:5] op_sel:[0,1] op_sel_hi:[1,0]
	v_pk_add_f32 v[10:11], v[24:25], v[70:71]
	v_mov_b32_e32 v5, v3
	v_mov_b32_e32 v3, v7
	ds_write_b64 v74, v[2:3] offset:128
	v_mul_lo_u16_sdwa v2, v60, s2 dst_sel:DWORD dst_unused:UNUSED_PAD src0_sel:BYTE_0 src1_sel:DWORD
	v_lshrrev_b16_e32 v55, 12, v2
	v_mul_lo_u16_e32 v2, 24, v55
	v_pk_add_f32 v[10:11], v[10:11], v[12:13]
	v_mov_b32_e32 v4, v6
	v_mov_b32_e32 v14, 5
	v_sub_u16_e32 v57, v60, v2
	ds_write2_b64 v74, v[10:11], v[4:5] offset1:8
	v_lshlrev_b32_sdwa v10, v14, v57 dst_sel:DWORD dst_unused:UNUSED_PAD src0_sel:DWORD src1_sel:BYTE_0
	s_waitcnt lgkmcnt(0)
	; wave barrier
	s_waitcnt lgkmcnt(0)
	global_load_dwordx4 v[2:5], v10, s[4:5] offset:176
	global_load_dwordx4 v[6:9], v10, s[4:5] offset:192
	v_mul_lo_u16_sdwa v10, v48, s2 dst_sel:DWORD dst_unused:UNUSED_PAD src0_sel:BYTE_0 src1_sel:DWORD
	v_lshrrev_b16_e32 v59, 12, v10
	v_mul_lo_u16_e32 v10, 24, v59
	v_sub_u16_e32 v61, v48, v10
	v_lshlrev_b32_sdwa v26, v14, v61 dst_sel:DWORD dst_unused:UNUSED_PAD src0_sel:DWORD src1_sel:BYTE_0
	global_load_dwordx4 v[10:13], v26, s[4:5] offset:176
	v_mul_lo_u16_sdwa v15, v44, s2 dst_sel:DWORD dst_unused:UNUSED_PAD src0_sel:BYTE_0 src1_sel:DWORD
	v_lshrrev_b16_e32 v87, 12, v15
	v_mul_lo_u16_e32 v15, 24, v87
	v_sub_u16_e32 v88, v44, v15
	v_lshlrev_b32_sdwa v27, v14, v88 dst_sel:DWORD dst_unused:UNUSED_PAD src0_sel:DWORD src1_sel:BYTE_0
	global_load_dwordx4 v[14:17], v27, s[4:5] offset:176
	global_load_dwordx4 v[18:21], v26, s[4:5] offset:192
	global_load_dwordx4 v[22:25], v27, s[4:5] offset:192
	ds_read_b64 v[38:39], v84
	ds_read_b64 v[40:41], v51
	ds_read2_b64 v[26:29], v49 offset0:24 offset1:136
	ds_read2_b64 v[30:33], v49 offset0:192 offset1:248
	v_add_u32_e32 v49, 0x400, v80
	ds_read2_b32 v[42:43], v49 offset0:192 offset1:193
	ds_read2_b64 v[34:37], v53 offset0:48 offset1:104
	s_mov_b32 s2, 0x3e9e377a
	s_waitcnt vmcnt(5) lgkmcnt(3)
	v_pk_mul_f32 v[62:63], v[26:27], v[2:3] op_sel:[0,1]
	s_nop 0
	v_pk_fma_f32 v[64:65], v[26:27], v[2:3], v[62:63] op_sel:[0,0,1] op_sel_hi:[1,1,0]
	v_pk_fma_f32 v[26:27], v[26:27], v[2:3], v[62:63] op_sel:[0,0,1] op_sel_hi:[1,0,0] neg_lo:[0,0,1] neg_hi:[0,0,1]
	v_mov_b32_e32 v2, v5
	s_waitcnt lgkmcnt(2)
	v_pk_mul_f32 v[2:3], v[30:31], v[2:3] op_sel_hi:[1,0]
	v_mov_b32_e32 v65, v27
	v_pk_fma_f32 v[66:67], v[30:31], v[4:5], v[2:3] op_sel:[0,0,1] op_sel_hi:[1,1,0]
	s_waitcnt vmcnt(3)
	v_mov_b32_e32 v26, v13
	v_pk_mul_f32 v[62:63], v[28:29], v[26:27] op_sel_hi:[1,0]
	v_pk_fma_f32 v[30:31], v[30:31], v[4:5], v[2:3] op_sel:[0,0,1] op_sel_hi:[1,0,0] neg_lo:[0,0,1] neg_hi:[0,0,1]
	v_pk_fma_f32 v[68:69], v[28:29], v[12:13], v[62:63] op_sel:[0,0,1] op_sel_hi:[1,1,0]
	v_pk_fma_f32 v[12:13], v[28:29], v[12:13], v[62:63] op_sel:[0,0,1] op_sel_hi:[1,0,0] neg_lo:[0,0,1] neg_hi:[0,0,1]
	ds_read_b64 v[62:63], v80 offset:6272
	s_waitcnt lgkmcnt(2)
	v_mov_b32_e32 v12, v43
	v_pk_mul_f32 v[28:29], v[12:13], v[10:11] op_sel_hi:[0,1]
	v_mov_b32_e32 v4, v9
	v_pk_fma_f32 v[70:71], v[10:11], v[42:43], v[28:29] op_sel:[0,0,1] op_sel_hi:[1,1,0]
	v_pk_fma_f32 v[10:11], v[10:11], v[42:43], v[28:29] op_sel:[0,0,1] op_sel_hi:[1,0,0] neg_lo:[1,0,0] neg_hi:[1,0,0]
	s_waitcnt vmcnt(2)
	v_pk_mul_f32 v[28:29], v[14:15], v[38:39] op_sel:[0,1]
	s_waitcnt lgkmcnt(1)
	v_pk_mul_f32 v[2:3], v[36:37], v[6:7] op_sel:[0,1]
	v_pk_fma_f32 v[42:43], v[14:15], v[38:39], v[28:29] op_sel:[0,0,1] op_sel_hi:[1,1,0]
	v_pk_fma_f32 v[14:15], v[14:15], v[38:39], v[28:29] op_sel:[0,0,1] op_sel_hi:[1,0,0] neg_lo:[1,0,0] neg_hi:[1,0,0]
	v_pk_mul_f32 v[28:29], v[16:17], v[40:41] op_sel:[0,1]
	s_waitcnt lgkmcnt(0)
	v_pk_mul_f32 v[4:5], v[62:63], v[4:5] op_sel_hi:[1,0]
	v_pk_fma_f32 v[38:39], v[16:17], v[40:41], v[28:29] op_sel:[0,0,1] op_sel_hi:[1,1,0]
	v_pk_fma_f32 v[16:17], v[16:17], v[40:41], v[28:29] op_sel:[0,0,1] op_sel_hi:[1,0,0] neg_lo:[1,0,0] neg_hi:[1,0,0]
	ds_read_b64 v[28:29], v86
	ds_read_b64 v[40:41], v85
	;; [unrolled: 1-line block ×3, first 2 shown]
	v_pk_fma_f32 v[74:75], v[62:63], v[8:9], v[4:5] op_sel:[0,0,1] op_sel_hi:[1,1,0]
	v_pk_fma_f32 v[8:9], v[62:63], v[8:9], v[4:5] op_sel:[0,0,1] op_sel_hi:[1,0,0] neg_lo:[0,0,1] neg_hi:[0,0,1]
	v_pk_fma_f32 v[76:77], v[36:37], v[6:7], v[2:3] op_sel:[0,0,1] op_sel_hi:[1,1,0]
	v_pk_fma_f32 v[6:7], v[36:37], v[6:7], v[2:3] op_sel:[0,0,1] op_sel_hi:[1,0,0] neg_lo:[0,0,1] neg_hi:[0,0,1]
	ds_read2_b64 v[2:5], v53 offset0:160 offset1:216
	s_waitcnt vmcnt(1)
	v_pk_mul_f32 v[36:37], v[34:35], v[18:19] op_sel:[0,1]
	v_mov_b32_e32 v6, v21
	v_pk_fma_f32 v[78:79], v[34:35], v[18:19], v[36:37] op_sel:[0,0,1] op_sel_hi:[1,1,0]
	v_pk_fma_f32 v[18:19], v[34:35], v[18:19], v[36:37] op_sel:[0,0,1] op_sel_hi:[1,0,0] neg_lo:[0,0,1] neg_hi:[0,0,1]
	s_waitcnt lgkmcnt(0)
	v_pk_mul_f32 v[34:35], v[4:5], v[6:7] op_sel_hi:[1,0]
	v_mov_b32_e32 v77, v7
	v_pk_fma_f32 v[36:37], v[4:5], v[20:21], v[34:35] op_sel:[0,0,1] op_sel_hi:[1,1,0]
	v_pk_fma_f32 v[4:5], v[4:5], v[20:21], v[34:35] op_sel:[0,0,1] op_sel_hi:[1,0,0] neg_lo:[0,0,1] neg_hi:[0,0,1]
	v_mov_b32_e32 v34, 3
	v_mul_u32_u24_e32 v4, 0x3c0, v87
	v_lshlrev_b32_sdwa v6, v34, v88 dst_sel:DWORD dst_unused:UNUSED_PAD src0_sel:DWORD src1_sel:BYTE_0
	v_add3_u32 v35, 0, v4, v6
	s_waitcnt vmcnt(0)
	v_pk_mul_f32 v[6:7], v[22:23], v[32:33] op_sel:[0,1]
	v_mov_b32_e32 v75, v9
	v_pk_fma_f32 v[8:9], v[22:23], v[32:33], v[6:7] op_sel:[0,0,1] op_sel_hi:[1,1,0]
	v_pk_fma_f32 v[6:7], v[22:23], v[32:33], v[6:7] op_sel:[0,0,1] op_sel_hi:[1,0,0] neg_lo:[1,0,0] neg_hi:[1,0,0]
	v_mov_b32_e32 v43, v15
	v_mov_b32_e32 v9, v7
	v_pk_mul_f32 v[6:7], v[24:25], v[2:3] op_sel:[0,1]
	v_mov_b32_e32 v39, v17
	v_pk_fma_f32 v[14:15], v[24:25], v[2:3], v[6:7] op_sel:[0,0,1] op_sel_hi:[1,1,0]
	v_pk_fma_f32 v[2:3], v[24:25], v[2:3], v[6:7] op_sel:[0,0,1] op_sel_hi:[1,0,0] neg_lo:[1,0,0] neg_hi:[1,0,0]
	v_pk_add_f32 v[6:7], v[38:39], v[8:9]
	v_mov_b32_e32 v15, v3
	v_pk_add_f32 v[16:17], v[42:43], v[14:15] neg_lo:[0,1] neg_hi:[0,1]
	v_pk_fma_f32 v[6:7], v[6:7], 0.5, v[72:73] op_sel_hi:[1,0,1] neg_lo:[1,0,0] neg_hi:[1,0,0]
	v_pk_mul_f32 v[20:21], v[16:17], s[8:9] op_sel_hi:[1,0]
	v_pk_add_f32 v[22:23], v[38:39], v[8:9] neg_lo:[0,1] neg_hi:[0,1]
	v_pk_add_f32 v[24:25], v[42:43], v[38:39] neg_lo:[0,1] neg_hi:[0,1]
	;; [unrolled: 1-line block ×3, first 2 shown]
	v_pk_add_f32 v[2:3], v[72:73], v[42:43]
	v_pk_add_f32 v[24:25], v[24:25], v[26:27]
	v_pk_add_f32 v[26:27], v[6:7], v[20:21] op_sel:[0,1] op_sel_hi:[1,0] neg_lo:[0,1] neg_hi:[0,1]
	v_pk_add_f32 v[6:7], v[6:7], v[20:21] op_sel:[0,1] op_sel_hi:[1,0]
	v_pk_mul_f32 v[20:21], v[22:23], s[6:7] op_sel_hi:[1,0]
	v_pk_add_f32 v[2:3], v[2:3], v[38:39]
	v_pk_add_f32 v[6:7], v[6:7], v[20:21] op_sel:[0,1] op_sel_hi:[1,0]
	v_pk_add_f32 v[20:21], v[26:27], v[20:21] op_sel:[0,1] op_sel_hi:[1,0] neg_lo:[0,1] neg_hi:[0,1]
	v_pk_add_f32 v[2:3], v[2:3], v[8:9]
	v_mov_b32_e32 v26, v20
	v_mov_b32_e32 v27, v7
	;; [unrolled: 1-line block ×3, first 2 shown]
	v_pk_add_f32 v[2:3], v[2:3], v[14:15]
	v_pk_fma_f32 v[26:27], v[24:25], s[2:3], v[26:27] op_sel_hi:[1,0,1]
	s_waitcnt lgkmcnt(0)
	; wave barrier
	ds_write2_b64 v35, v[2:3], v[26:27] offset1:24
	v_pk_add_f32 v[2:3], v[64:65], v[66:67] neg_lo:[0,1] neg_hi:[0,1]
	v_pk_add_f32 v[26:27], v[74:75], v[76:77] neg_lo:[0,1] neg_hi:[0,1]
	v_mov_b32_e32 v71, v11
	v_pk_add_f32 v[2:3], v[2:3], v[26:27]
	v_pk_add_f32 v[26:27], v[66:67], v[76:77]
	v_pk_add_f32 v[10:11], v[64:65], v[74:75] neg_lo:[0,1] neg_hi:[0,1]
	v_pk_fma_f32 v[26:27], v[26:27], 0.5, v[40:41] op_sel_hi:[1,0,1] neg_lo:[1,0,0] neg_hi:[1,0,0]
	v_mov_b32_e32 v69, v13
	v_pk_add_f32 v[12:13], v[66:67], v[76:77] neg_lo:[0,1] neg_hi:[0,1]
	v_mov_b32_e32 v79, v19
	v_pk_fma_f32 v[18:19], v[10:11], s[8:9], v[26:27] op_sel:[1,0,0] op_sel_hi:[0,0,1]
	v_pk_fma_f32 v[26:27], v[10:11], s[8:9], v[26:27] op_sel:[1,0,0] op_sel_hi:[0,0,1] neg_lo:[1,0,0] neg_hi:[1,0,0]
	v_mov_b32_e32 v37, v5
	v_pk_add_f32 v[4:5], v[42:43], v[14:15]
	v_pk_fma_f32 v[26:27], v[12:13], s[6:7], v[26:27] op_sel:[1,0,0] op_sel_hi:[0,0,1] neg_lo:[1,0,0] neg_hi:[1,0,0]
	v_pk_fma_f32 v[18:19], v[12:13], s[6:7], v[18:19] op_sel:[1,0,0] op_sel_hi:[0,0,1]
	v_pk_fma_f32 v[4:5], v[4:5], 0.5, v[72:73] op_sel_hi:[1,0,1] neg_lo:[1,0,0] neg_hi:[1,0,0]
	v_pk_add_f32 v[8:9], v[8:9], v[14:15] neg_lo:[0,1] neg_hi:[0,1]
	v_pk_mul_f32 v[14:15], v[22:23], s[8:9] op_sel_hi:[1,0]
	v_mov_b32_e32 v30, v18
	v_mov_b32_e32 v31, v27
	v_pk_mul_f32 v[16:17], v[16:17], s[6:7] op_sel_hi:[1,0]
	v_pk_add_f32 v[22:23], v[4:5], v[14:15] op_sel:[0,1] op_sel_hi:[1,0]
	v_pk_add_f32 v[4:5], v[4:5], v[14:15] op_sel:[0,1] op_sel_hi:[1,0] neg_lo:[0,1] neg_hi:[0,1]
	v_pk_fma_f32 v[62:63], v[2:3], s[2:3], v[30:31] op_sel_hi:[1,0,1]
	v_pk_add_f32 v[30:31], v[38:39], v[42:43] neg_lo:[0,1] neg_hi:[0,1]
	v_pk_add_f32 v[4:5], v[4:5], v[16:17] op_sel:[0,1] op_sel_hi:[1,0]
	v_pk_add_f32 v[14:15], v[22:23], v[16:17] op_sel:[0,1] op_sel_hi:[1,0] neg_lo:[0,1] neg_hi:[0,1]
	v_mul_u32_u24_e32 v7, 0x3c0, v59
	v_lshlrev_b32_sdwa v18, v34, v61 dst_sel:DWORD dst_unused:UNUSED_PAD src0_sel:DWORD src1_sel:BYTE_0
	v_pk_add_f32 v[8:9], v[30:31], v[8:9]
	v_mov_b32_e32 v16, v14
	v_mov_b32_e32 v17, v5
	;; [unrolled: 1-line block ×3, first 2 shown]
	v_add3_u32 v18, 0, v7, v18
	v_pk_fma_f32 v[16:17], v[8:9], s[2:3], v[16:17] op_sel_hi:[1,0,1]
	v_pk_fma_f32 v[4:5], v[8:9], s[2:3], v[4:5] op_sel_hi:[1,0,1]
	v_mov_b32_e32 v7, v21
	ds_write2_b64 v35, v[16:17], v[4:5] offset0:48 offset1:72
	v_pk_fma_f32 v[4:5], v[24:25], s[2:3], v[6:7] op_sel_hi:[1,0,1]
	ds_write_b64 v35, v[4:5] offset:768
	v_pk_add_f32 v[4:5], v[68:69], v[78:79]
	v_pk_add_f32 v[6:7], v[70:71], v[36:37] neg_lo:[0,1] neg_hi:[0,1]
	v_pk_fma_f32 v[4:5], v[4:5], 0.5, v[28:29] op_sel_hi:[1,0,1] neg_lo:[1,0,0] neg_hi:[1,0,0]
	v_pk_mul_f32 v[8:9], v[6:7], s[8:9] op_sel_hi:[1,0]
	v_pk_add_f32 v[14:15], v[68:69], v[78:79] neg_lo:[0,1] neg_hi:[0,1]
	v_pk_add_f32 v[20:21], v[70:71], v[68:69] neg_lo:[0,1] neg_hi:[0,1]
	;; [unrolled: 1-line block ×3, first 2 shown]
	v_pk_add_f32 v[32:33], v[28:29], v[70:71]
	v_pk_mul_f32 v[16:17], v[14:15], s[6:7] op_sel_hi:[1,0]
	v_pk_add_f32 v[20:21], v[20:21], v[22:23]
	v_pk_add_f32 v[22:23], v[4:5], v[8:9] op_sel:[0,1] op_sel_hi:[1,0] neg_lo:[0,1] neg_hi:[0,1]
	v_pk_add_f32 v[4:5], v[4:5], v[8:9] op_sel:[0,1] op_sel_hi:[1,0]
	v_pk_add_f32 v[32:33], v[32:33], v[68:69]
	v_pk_add_f32 v[4:5], v[4:5], v[16:17] op_sel:[0,1] op_sel_hi:[1,0]
	v_pk_add_f32 v[8:9], v[22:23], v[16:17] op_sel:[0,1] op_sel_hi:[1,0] neg_lo:[0,1] neg_hi:[0,1]
	v_pk_add_f32 v[32:33], v[32:33], v[78:79]
	v_mov_b32_e32 v16, v8
	v_mov_b32_e32 v17, v5
	v_pk_add_f32 v[32:33], v[32:33], v[36:37]
	v_pk_fma_f32 v[16:17], v[20:21], s[2:3], v[16:17] op_sel_hi:[1,0,1]
	ds_write2_b64 v18, v[32:33], v[16:17] offset1:24
	v_pk_add_f32 v[16:17], v[70:71], v[36:37]
	v_pk_add_f32 v[22:23], v[68:69], v[70:71] neg_lo:[0,1] neg_hi:[0,1]
	v_pk_fma_f32 v[16:17], v[16:17], 0.5, v[28:29] op_sel_hi:[1,0,1] neg_lo:[1,0,0] neg_hi:[1,0,0]
	v_pk_add_f32 v[24:25], v[78:79], v[36:37] neg_lo:[0,1] neg_hi:[0,1]
	v_pk_mul_f32 v[14:15], v[14:15], s[8:9] op_sel_hi:[1,0]
	v_pk_add_f32 v[22:23], v[22:23], v[24:25]
	v_pk_mul_f32 v[6:7], v[6:7], s[6:7] op_sel_hi:[1,0]
	v_pk_add_f32 v[24:25], v[16:17], v[14:15] op_sel:[0,1] op_sel_hi:[1,0]
	v_pk_add_f32 v[14:15], v[16:17], v[14:15] op_sel:[0,1] op_sel_hi:[1,0] neg_lo:[0,1] neg_hi:[0,1]
	v_mov_b32_e32 v5, v9
	v_pk_add_f32 v[14:15], v[14:15], v[6:7] op_sel:[0,1] op_sel_hi:[1,0]
	v_pk_add_f32 v[6:7], v[24:25], v[6:7] op_sel:[0,1] op_sel_hi:[1,0] neg_lo:[0,1] neg_hi:[0,1]
	v_pk_fma_f32 v[4:5], v[20:21], s[2:3], v[4:5] op_sel_hi:[1,0,1]
	v_mov_b32_e32 v17, v15
	v_mov_b32_e32 v15, v7
	ds_write_b64 v18, v[4:5] offset:768
	v_mul_u32_u24_e32 v4, 0x3c0, v55
	v_lshlrev_b32_sdwa v5, v34, v57 dst_sel:DWORD dst_unused:UNUSED_PAD src0_sel:DWORD src1_sel:BYTE_0
	v_mov_b32_e32 v16, v6
	v_pk_fma_f32 v[6:7], v[22:23], s[2:3], v[14:15] op_sel_hi:[1,0,1]
	v_add3_u32 v14, 0, v4, v5
	v_pk_add_f32 v[4:5], v[40:41], v[64:65]
	v_mov_b32_e32 v27, v19
	v_pk_add_f32 v[4:5], v[4:5], v[66:67]
	v_pk_fma_f32 v[16:17], v[22:23], s[2:3], v[16:17] op_sel_hi:[1,0,1]
	v_pk_add_f32 v[4:5], v[4:5], v[76:77]
	v_pk_fma_f32 v[2:3], v[2:3], s[2:3], v[26:27] op_sel_hi:[1,0,1]
	v_pk_add_f32 v[4:5], v[4:5], v[74:75]
	ds_write2_b64 v18, v[16:17], v[6:7] offset0:48 offset1:72
	ds_write2_b64 v14, v[4:5], v[2:3] offset1:24
	v_pk_add_f32 v[2:3], v[64:65], v[74:75]
	v_pk_add_f32 v[4:5], v[66:67], v[64:65] neg_lo:[0,1] neg_hi:[0,1]
	v_pk_fma_f32 v[2:3], v[2:3], 0.5, v[40:41] op_sel_hi:[1,0,1] neg_lo:[1,0,0] neg_hi:[1,0,0]
	v_pk_add_f32 v[6:7], v[76:77], v[74:75] neg_lo:[0,1] neg_hi:[0,1]
	s_nop 0
	v_pk_add_f32 v[4:5], v[4:5], v[6:7]
	v_pk_fma_f32 v[6:7], v[12:13], s[8:9], v[2:3] op_sel:[1,0,0] op_sel_hi:[0,0,1]
	v_pk_fma_f32 v[2:3], v[12:13], s[8:9], v[2:3] op_sel:[1,0,0] op_sel_hi:[0,0,1] neg_lo:[1,0,0] neg_hi:[1,0,0]
	v_pk_fma_f32 v[2:3], v[10:11], s[6:7], v[2:3] op_sel:[1,0,0] op_sel_hi:[0,0,1]
	v_pk_fma_f32 v[6:7], v[10:11], s[6:7], v[6:7] op_sel:[1,0,0] op_sel_hi:[0,0,1] neg_lo:[1,0,0] neg_hi:[1,0,0]
	v_mov_b32_e32 v8, v6
	v_mov_b32_e32 v9, v3
	;; [unrolled: 1-line block ×3, first 2 shown]
	v_pk_fma_f32 v[8:9], v[4:5], s[2:3], v[8:9] op_sel_hi:[1,0,1]
	v_pk_fma_f32 v[2:3], v[4:5], s[2:3], v[2:3] op_sel_hi:[1,0,1]
	ds_write2_b64 v14, v[8:9], v[2:3] offset0:48 offset1:72
	ds_write_b64 v14, v[62:63] offset:768
	v_add_u32_e32 v2, 0x140, v80
	s_waitcnt lgkmcnt(0)
	; wave barrier
	s_waitcnt lgkmcnt(0)
	ds_read2_b64 v[12:15], v80 offset1:120
	ds_read2_b64 v[24:27], v80 offset0:176 offset1:240
	ds_read2st64_b64 v[40:43], v2 offset0:4 offset1:5
	v_add_u32_e32 v2, 0x100, v80
	ds_read2st64_b64 v[32:35], v2 offset0:6 offset1:7
	v_add_u32_e32 v2, 0xc0, v80
	;; [unrolled: 2-line block ×3, first 2 shown]
	ds_read2st64_b64 v[16:19], v2 offset0:10 offset1:11
	ds_read_b64 v[64:65], v86
	ds_read_b64 v[68:69], v80 offset:6208
	v_cmp_gt_u32_e64 s[2:3], 8, v44
                                        ; implicit-def: $vgpr7
                                        ; implicit-def: $vgpr10
	s_and_saveexec_b64 s[6:7], s[2:3]
	s_cbranch_execz .LBB0_25
; %bb.24:
	v_add_u32_e32 v4, 0xc00, v80
	ds_read_b64 v[62:63], v85
	ds_read2_b64 v[0:3], v49 offset0:104 offset1:224
	ds_read2_b64 v[8:11], v4 offset0:88 offset1:208
	v_add_u32_e32 v4, 0x1400, v80
	ds_read2_b64 v[4:7], v4 offset0:72 offset1:192
.LBB0_25:
	s_or_b64 exec, exec, s[6:7]
	v_mul_u32_u24_e32 v28, 6, v44
	v_lshlrev_b32_e32 v38, 3, v28
	global_load_dwordx4 v[88:91], v38, s[4:5] offset:960
	v_mul_i32_i24_e32 v66, 6, v48
	v_mov_b32_e32 v67, 0
	v_lshl_add_u64 v[36:37], v[66:67], 3, s[4:5]
	global_load_dwordx4 v[92:95], v[36:37], off offset:944
	global_load_dwordx4 v[96:99], v[36:37], off offset:976
	;; [unrolled: 1-line block ×3, first 2 shown]
	global_load_dwordx4 v[28:31], v38, s[4:5] offset:944
	s_waitcnt lgkmcnt(5)
	v_mov_b32_e32 v78, v43
	global_load_dwordx4 v[36:39], v38, s[4:5] offset:976
	v_mov_b32_e32 v79, v42
	s_waitcnt lgkmcnt(4)
	v_mov_b32_e32 v104, v35
	v_mov_b32_e32 v105, v34
	s_waitcnt lgkmcnt(0)
	v_mov_b32_e32 v106, v69
	v_mov_b32_e32 v66, v25
	;; [unrolled: 1-line block ×5, first 2 shown]
	s_mov_b32 s8, 0x3f08b237
	s_mov_b32 s16, 0x3d64c772
	;; [unrolled: 1-line block ×10, first 2 shown]
	s_waitcnt lgkmcnt(0)
	; wave barrier
	s_mov_b32 s12, 0xbf5ff5aa
	s_mov_b32 s14, 0x3f3bfb3b
	s_waitcnt vmcnt(5)
	v_pk_mul_f32 v[76:77], v[90:91], v[34:35] op_sel_hi:[1,0]
	s_waitcnt vmcnt(4)
	v_pk_mul_f32 v[114:115], v[92:93], v[24:25] op_sel_hi:[1,0]
	s_waitcnt vmcnt(3)
	v_pk_mul_f32 v[34:35], v[68:69], v[98:99] op_sel_hi:[0,1]
	v_pk_mul_f32 v[116:117], v[16:17], v[96:97] op_sel_hi:[0,1]
	v_pk_mul_f32 v[110:111], v[94:95], v[40:41] op_sel_hi:[1,0]
	v_pk_mul_f32 v[112:113], v[88:89], v[78:79]
	v_pk_fma_f32 v[24:25], v[92:93], v[24:25], v[114:115] op_sel:[0,1,1] op_sel_hi:[1,1,0]
	v_pk_fma_f32 v[106:107], v[106:107], v[98:99], v[34:35] op_sel:[0,0,1] op_sel_hi:[1,1,0] neg_lo:[0,0,1] neg_hi:[0,0,1]
	v_pk_fma_f32 v[34:35], v[68:69], v[98:99], v[34:35] op_sel:[1,0,1] op_sel_hi:[1,1,0]
	v_pk_fma_f32 v[16:17], v[16:17], v[96:97], v[116:117] op_sel:[1,0,1] op_sel_hi:[1,1,0]
	v_pk_mul_f32 v[72:73], v[88:89], v[42:43] op_sel_hi:[1,0]
	v_mov_b32_e32 v42, v89
	v_pk_fma_f32 v[118:119], v[94:95], v[40:41], v[110:111] op_sel:[0,1,1] op_sel_hi:[1,1,0]
	v_pk_fma_f32 v[94:95], v[94:95], v[70:71], v[110:111] op_sel:[0,0,1] op_sel_hi:[1,1,0] neg_lo:[0,0,1] neg_hi:[0,0,1]
	v_pk_fma_f32 v[110:111], v[92:93], v[66:67], v[114:115] op_sel:[0,0,1] op_sel_hi:[1,1,0] neg_lo:[0,0,1] neg_hi:[0,0,1]
	s_waitcnt vmcnt(2)
	v_mov_b32_e32 v24, v101
	v_pk_mul_f32 v[92:93], v[32:33], v[100:101] op_sel:[1,0] op_sel_hi:[0,1]
	v_mov_b32_e32 v16, v103
	v_mov_b32_e32 v34, v113
	v_pk_mul_f32 v[70:71], v[90:91], v[104:105]
	v_pk_mul_f32 v[68:69], v[32:33], v[100:101]
	v_pk_fma_f32 v[98:99], v[74:75], v[96:97], v[116:117] op_sel:[0,0,1] op_sel_hi:[1,1,0] neg_lo:[0,0,1] neg_hi:[0,0,1]
	v_pk_mul_f32 v[96:97], v[20:21], v[102:103]
	v_pk_fma_f32 v[74:75], v[88:89], v[78:79], v[34:35] neg_lo:[0,0,1] neg_hi:[0,0,1]
	v_pk_mul_f32 v[88:89], v[20:21], v[102:103] op_sel:[1,0] op_sel_hi:[0,1]
	v_pk_mul_f32 v[112:113], v[32:33], v[24:25] op_sel:[1,0] op_sel_hi:[0,1]
	v_mov_b32_e32 v24, v93
	v_pk_mul_f32 v[92:93], v[42:43], v[78:79]
	v_pk_mul_f32 v[78:79], v[20:21], v[16:17] op_sel:[1,0] op_sel_hi:[0,1]
	v_mov_b32_e32 v40, v91
	v_mov_b32_e32 v66, v71
	;; [unrolled: 1-line block ×7, first 2 shown]
	v_pk_fma_f32 v[70:71], v[90:91], v[104:105], v[66:67] neg_lo:[0,0,1] neg_hi:[0,0,1]
	v_pk_mul_f32 v[104:105], v[40:41], v[104:105]
	v_pk_fma_f32 v[42:43], v[32:33], v[100:101], v[24:25] op_sel:[1,0,0] op_sel_hi:[0,1,1] neg_lo:[0,0,1] neg_hi:[0,0,1]
	v_pk_fma_f32 v[40:41], v[20:21], v[102:103], v[34:35] op_sel:[1,0,0] op_sel_hi:[0,1,1] neg_lo:[0,0,1] neg_hi:[0,0,1]
	v_mov_b32_e32 v111, v25
	v_mov_b32_e32 v99, v17
	v_pk_add_f32 v[16:17], v[96:97], v[78:79]
	v_pk_add_f32 v[24:25], v[68:69], v[112:113]
	s_waitcnt vmcnt(1)
	v_pk_mul_f32 v[90:91], v[28:29], v[14:15] op_sel_hi:[1,0]
	v_mov_b32_e32 v95, v119
	v_mov_b32_e32 v107, v35
	;; [unrolled: 1-line block ×4, first 2 shown]
	v_pk_fma_f32 v[88:89], v[28:29], v[108:109], v[90:91] op_sel:[0,0,1] op_sel_hi:[1,1,0] neg_lo:[0,0,1] neg_hi:[0,0,1]
	v_pk_fma_f32 v[90:91], v[28:29], v[14:15], v[90:91] op_sel:[0,1,1] op_sel_hi:[1,1,0]
	v_pk_add_f32 v[14:15], v[110:111], v[106:107]
	v_pk_add_f32 v[28:29], v[110:111], v[106:107] neg_lo:[0,1] neg_hi:[0,1]
	v_pk_add_f32 v[34:35], v[94:95], v[98:99] neg_lo:[0,1] neg_hi:[0,1]
	;; [unrolled: 1-line block ×3, first 2 shown]
	v_pk_add_f32 v[32:33], v[94:95], v[98:99]
	v_mov_b32_e32 v21, v29
	v_mov_b32_e32 v68, v34
	v_mov_b32_e32 v78, v28
	v_mov_b32_e32 v95, v35
	v_mov_b32_e32 v20, v96
	v_mov_b32_e32 v69, v97
	v_mov_b32_e32 v79, v97
	v_mov_b32_e32 v94, v96
	v_mov_b32_e32 v89, v91
	v_mov_b32_e32 v14, v27
	v_pk_mul_f32 v[90:91], v[30:31], v[26:27] op_sel_hi:[1,0]
	v_pk_add_f32 v[20:21], v[20:21], v[68:69] neg_lo:[0,1] neg_hi:[0,1]
	v_pk_add_f32 v[68:69], v[78:79], v[94:95] neg_lo:[0,1] neg_hi:[0,1]
	v_pk_fma_f32 v[94:95], v[30:31], v[26:27], v[90:91] op_sel:[0,1,1] op_sel_hi:[1,1,0]
	v_pk_fma_f32 v[30:31], v[30:31], v[14:15], v[90:91] op_sel:[0,0,1] op_sel_hi:[1,1,0] neg_lo:[0,0,1] neg_hi:[0,0,1]
	v_mov_b32_e32 v14, v23
	s_waitcnt vmcnt(0)
	v_pk_mul_f32 v[90:91], v[36:37], v[22:23] op_sel_hi:[1,0]
	v_mov_b32_e32 v31, v95
	v_pk_fma_f32 v[94:95], v[36:37], v[14:15], v[90:91] op_sel:[0,0,1] op_sel_hi:[1,1,0] neg_lo:[0,0,1] neg_hi:[0,0,1]
	v_pk_fma_f32 v[22:23], v[36:37], v[22:23], v[90:91] op_sel:[0,1,1] op_sel_hi:[1,1,0]
	v_mov_b32_e32 v14, v19
	v_mov_b32_e32 v95, v23
	v_pk_mul_f32 v[22:23], v[38:39], v[18:19] op_sel_hi:[1,0]
	v_mov_b32_e32 v77, v88
	v_pk_fma_f32 v[36:37], v[38:39], v[14:15], v[22:23] op_sel:[0,0,1] op_sel_hi:[1,1,0] neg_lo:[0,0,1] neg_hi:[0,0,1]
	v_pk_fma_f32 v[18:19], v[38:39], v[18:19], v[22:23] op_sel:[0,1,1] op_sel_hi:[1,1,0]
	v_mov_b32_e32 v105, v36
	v_mov_b32_e32 v37, v19
	;; [unrolled: 1-line block ×4, first 2 shown]
	v_pk_add_f32 v[18:19], v[88:89], v[36:37]
	v_pk_add_f32 v[22:23], v[88:89], v[36:37] neg_lo:[0,1] neg_hi:[0,1]
	v_pk_add_f32 v[38:39], v[30:31], v[94:95]
	v_pk_add_f32 v[90:91], v[30:31], v[94:95] neg_lo:[0,1] neg_hi:[0,1]
	v_pk_add_f32 v[36:37], v[76:77], v[104:105]
	v_pk_add_f32 v[30:31], v[72:73], v[92:93]
	v_mov_b32_e32 v71, v36
	v_mov_b32_e32 v75, v30
	v_pk_add_f32 v[72:73], v[70:71], v[74:75] neg_lo:[0,1] neg_hi:[0,1]
	v_mov_b32_e32 v94, v39
	v_mov_b32_e32 v95, v74
	;; [unrolled: 1-line block ×4, first 2 shown]
	v_pk_add_f32 v[70:71], v[94:95], v[74:75]
	v_pk_add_f32 v[74:75], v[30:31], v[36:37]
	v_mov_b32_e32 v76, v72
	v_mov_b32_e32 v77, v23
	;; [unrolled: 1-line block ×6, first 2 shown]
	v_pk_add_f32 v[26:27], v[96:97], v[34:35]
	v_pk_add_f32 v[76:77], v[76:77], v[88:89] neg_lo:[0,1] neg_hi:[0,1]
	v_mov_b32_e32 v88, v22
	v_mov_b32_e32 v92, v72
	;; [unrolled: 1-line block ×3, first 2 shown]
	v_pk_add_f32 v[94:95], v[36:37], v[94:95] neg_lo:[0,1] neg_hi:[0,1]
	v_mov_b32_e32 v96, v19
	v_mov_b32_e32 v97, v71
	;; [unrolled: 1-line block ×3, first 2 shown]
	v_pk_add_f32 v[70:71], v[70:71], v[74:75]
	v_pk_mul_f32 v[76:77], v[76:77], s[8:9]
	v_pk_add_f32 v[88:89], v[88:89], v[92:93] neg_lo:[0,1] neg_hi:[0,1]
	v_pk_add_f32 v[72:73], v[72:73], v[90:91]
	v_pk_add_f32 v[96:97], v[96:97], v[30:31] neg_lo:[0,1] neg_hi:[0,1]
	v_pk_add_f32 v[12:13], v[70:71], v[12:13]
	v_pk_mul_f32 v[74:75], v[94:95], s[16:17]
	v_pk_mul_f32 v[92:93], v[88:89], s[6:7]
	v_pk_add_f32 v[72:73], v[72:73], v[22:23]
	v_pk_mul_f32 v[94:95], v[96:97], s[18:19]
	v_pk_fma_f32 v[70:71], v[70:71], s[20:21], v[12:13] op_sel_hi:[1,0,1] neg_lo:[1,0,0] neg_hi:[1,0,0]
	v_pk_fma_f32 v[96:97], v[96:97], s[18:19], v[74:75]
	v_pk_fma_f32 v[88:89], v[88:89], s[6:7], v[76:77]
	v_pk_add_f32 v[96:97], v[96:97], v[70:71]
	v_pk_fma_f32 v[88:89], v[72:73], s[10:11], v[88:89] op_sel_hi:[1,0,1]
	v_mov_b32_e32 v30, v39
	v_pk_add_f32 v[98:99], v[96:97], v[88:89]
	v_pk_add_f32 v[88:89], v[96:97], v[88:89] neg_lo:[0,1] neg_hi:[0,1]
	v_mov_b32_e32 v96, v98
	v_mov_b32_e32 v97, v89
	v_mov_b32_e32 v36, v19
	ds_write2_b64 v80, v[12:13], v[96:97] offset1:120
	v_pk_add_f32 v[12:13], v[90:91], v[22:23] neg_lo:[0,1] neg_hi:[0,1]
	v_pk_add_f32 v[18:19], v[30:31], v[36:37] neg_lo:[0,1] neg_hi:[0,1]
	v_mov_b32_e32 v22, v94
	v_mov_b32_e32 v23, v75
	;; [unrolled: 1-line block ×6, first 2 shown]
	v_pk_fma_f32 v[22:23], v[18:19], s[14:15], v[22:23] op_sel_hi:[1,0,1] neg_lo:[1,0,1] neg_hi:[1,0,1]
	v_pk_fma_f32 v[30:31], v[12:13], s[12:13], v[30:31] op_sel_hi:[1,0,1] neg_lo:[1,0,1] neg_hi:[1,0,1]
	;; [unrolled: 1-line block ×4, first 2 shown]
	v_pk_add_f32 v[22:23], v[22:23], v[70:71]
	v_pk_fma_f32 v[30:31], v[72:73], s[10:11], v[30:31] op_sel_hi:[1,0,1]
	v_pk_add_f32 v[18:19], v[18:19], v[70:71]
	v_pk_fma_f32 v[12:13], v[72:73], s[10:11], v[12:13] op_sel_hi:[1,0,1]
	v_pk_add_f32 v[36:37], v[22:23], v[30:31]
	v_pk_add_f32 v[22:23], v[22:23], v[30:31] neg_lo:[0,1] neg_hi:[0,1]
	v_pk_add_f32 v[38:39], v[18:19], v[12:13] neg_lo:[0,1] neg_hi:[0,1]
	v_pk_add_f32 v[12:13], v[18:19], v[12:13]
	v_mov_b32_e32 v30, v36
	v_mov_b32_e32 v31, v23
	;; [unrolled: 1-line block ×6, first 2 shown]
	v_add_u32_e32 v14, 0xc00, v80
	ds_write2_b64 v49, v[30:31], v[18:19] offset0:112 offset1:232
	ds_write2_b64 v14, v[12:13], v[22:23] offset0:96 offset1:216
	v_mov_b32_e32 v12, v33
	v_mov_b32_e32 v13, v42
	;; [unrolled: 1-line block ×4, first 2 shown]
	v_pk_add_f32 v[12:13], v[12:13], v[18:19]
	v_pk_add_f32 v[18:19], v[24:25], v[16:17]
	v_mov_b32_e32 v22, v33
	v_mov_b32_e32 v16, v18
	v_mov_b32_e32 v23, v13
	v_pk_add_f32 v[22:23], v[16:17], v[22:23] neg_lo:[0,1] neg_hi:[0,1]
	v_mov_b32_e32 v30, v15
	v_mov_b32_e32 v31, v13
	;; [unrolled: 1-line block ×3, first 2 shown]
	v_pk_add_f32 v[12:13], v[12:13], v[18:19]
	v_pk_mul_f32 v[20:21], v[20:21], s[8:9]
	v_pk_add_f32 v[30:31], v[30:31], v[24:25] neg_lo:[0,1] neg_hi:[0,1]
	v_pk_add_f32 v[18:19], v[12:13], v[64:65]
	v_pk_mul_f32 v[22:23], v[22:23], s[16:17]
	v_pk_add_f32 v[26:27], v[26:27], v[28:29]
	v_pk_mul_f32 v[36:37], v[30:31], s[18:19]
	v_pk_fma_f32 v[12:13], v[12:13], s[20:21], v[18:19] op_sel_hi:[1,0,1] neg_lo:[1,0,0] neg_hi:[1,0,0]
	v_pk_fma_f32 v[30:31], v[30:31], s[18:19], v[22:23]
	v_pk_fma_f32 v[38:39], v[68:69], s[6:7], v[20:21]
	v_pk_add_f32 v[30:31], v[30:31], v[12:13]
	v_pk_fma_f32 v[38:39], v[26:27], s[10:11], v[38:39] op_sel_hi:[1,0,1]
	v_pk_mul_f32 v[78:79], v[68:69], s[6:7]
	v_pk_add_f32 v[40:41], v[30:31], v[38:39]
	v_pk_add_f32 v[30:31], v[30:31], v[38:39] neg_lo:[0,1] neg_hi:[0,1]
	v_mov_b32_e32 v89, v99
	v_mov_b32_e32 v38, v40
	;; [unrolled: 1-line block ×5, first 2 shown]
	ds_write_b64 v80, v[88:89] offset:5760
	ds_write2_b64 v86, v[18:19], v[38:39] offset1:120
	v_pk_add_f32 v[18:19], v[34:35], v[28:29] neg_lo:[0,1] neg_hi:[0,1]
	v_pk_add_f32 v[14:15], v[24:25], v[16:17] neg_lo:[0,1] neg_hi:[0,1]
	v_mov_b32_e32 v16, v36
	v_mov_b32_e32 v17, v23
	;; [unrolled: 1-line block ×6, first 2 shown]
	v_pk_fma_f32 v[16:17], v[14:15], s[14:15], v[16:17] op_sel_hi:[1,0,1] neg_lo:[1,0,1] neg_hi:[1,0,1]
	v_pk_fma_f32 v[24:25], v[18:19], s[12:13], v[24:25] op_sel_hi:[1,0,1] neg_lo:[1,0,1] neg_hi:[1,0,1]
	v_pk_fma_f32 v[14:15], v[14:15], s[14:15], v[22:23] op_sel_hi:[1,0,1] neg_lo:[0,0,1] neg_hi:[0,0,1]
	v_pk_fma_f32 v[18:19], v[18:19], s[12:13], v[20:21] op_sel_hi:[1,0,1] neg_lo:[0,0,1] neg_hi:[0,0,1]
	v_pk_add_f32 v[16:17], v[16:17], v[12:13]
	v_pk_fma_f32 v[24:25], v[26:27], s[10:11], v[24:25] op_sel_hi:[1,0,1]
	v_pk_add_f32 v[12:13], v[14:15], v[12:13]
	v_pk_fma_f32 v[14:15], v[26:27], s[10:11], v[18:19] op_sel_hi:[1,0,1]
	v_pk_add_f32 v[28:29], v[16:17], v[24:25]
	v_pk_add_f32 v[16:17], v[16:17], v[24:25] neg_lo:[0,1] neg_hi:[0,1]
	v_pk_add_f32 v[18:19], v[12:13], v[14:15] neg_lo:[0,1] neg_hi:[0,1]
	v_pk_add_f32 v[12:13], v[12:13], v[14:15]
	v_mov_b32_e32 v24, v28
	v_mov_b32_e32 v25, v17
	;; [unrolled: 1-line block ×4, first 2 shown]
	v_add_u32_e32 v13, 0x400, v86
	ds_write2_b64 v13, v[24:25], v[14:15] offset0:112 offset1:232
	v_mov_b32_e32 v13, v19
	v_mov_b32_e32 v17, v29
	v_add_u32_e32 v14, 0xc00, v86
	v_mov_b32_e32 v31, v41
	ds_write2_b64 v14, v[12:13], v[16:17] offset0:96 offset1:216
	ds_write_b64 v86, v[30:31] offset:5760
	s_and_saveexec_b64 s[20:21], s[2:3]
	s_cbranch_execz .LBB0_27
; %bb.26:
	v_add_u32_e32 v12, -8, v44
	v_cndmask_b32_e64 v12, v12, v60, s[2:3]
	v_mul_i32_i24_e32 v66, 6, v12
	v_lshl_add_u64 v[24:25], v[66:67], 3, s[4:5]
	global_load_dwordx4 v[12:15], v[24:25], off offset:944
	global_load_dwordx4 v[16:19], v[24:25], off offset:976
	;; [unrolled: 1-line block ×3, first 2 shown]
	v_mov_b32_e32 v24, v11
	v_mov_b32_e32 v25, v10
	v_mov_b32_e32 v26, v9
	v_mov_b32_e32 v27, v8
	v_mov_b32_e32 v28, v1
	v_mov_b32_e32 v30, v1
	v_mov_b32_e32 v32, v7
	v_mov_b32_e32 v34, v7
	v_mov_b32_e32 v36, v3
	v_mov_b32_e32 v38, v3
	v_mov_b32_e32 v40, v5
	v_mov_b32_e32 v42, v5
	s_mov_b32 s2, 0xbf955555
	s_waitcnt vmcnt(2)
	v_pk_mul_f32 v[0:1], v[0:1], v[12:13] op_sel_hi:[0,1]
	s_waitcnt vmcnt(1)
	v_pk_mul_f32 v[6:7], v[6:7], v[18:19] op_sel_hi:[0,1]
	s_waitcnt vmcnt(0)
	v_mov_b32_e32 v64, v23
	v_mov_b32_e32 v66, v21
	v_pk_mul_f32 v[2:3], v[2:3], v[14:15] op_sel_hi:[0,1]
	v_pk_mul_f32 v[4:5], v[4:5], v[16:17] op_sel_hi:[0,1]
	v_pk_mul_f32 v[10:11], v[10:11], v[22:23]
	v_pk_mul_f32 v[8:9], v[8:9], v[20:21]
	v_pk_mul_f32 v[68:69], v[26:27], v[20:21]
	v_pk_mul_f32 v[70:71], v[24:25], v[22:23]
	v_pk_mul_f32 v[64:65], v[24:25], v[64:65]
	v_pk_mul_f32 v[66:67], v[26:27], v[66:67]
	v_pk_fma_f32 v[32:33], v[32:33], v[18:19], v[6:7] op_sel:[0,0,1] op_sel_hi:[1,1,0] neg_lo:[0,0,1] neg_hi:[0,0,1]
	v_pk_fma_f32 v[6:7], v[34:35], v[18:19], v[6:7] op_sel:[0,0,1] op_sel_hi:[0,1,0]
	v_pk_fma_f32 v[18:19], v[28:29], v[12:13], v[0:1] op_sel:[0,0,1] op_sel_hi:[1,1,0] neg_lo:[0,0,1] neg_hi:[0,0,1]
	v_pk_fma_f32 v[0:1], v[30:31], v[12:13], v[0:1] op_sel:[0,0,1] op_sel_hi:[0,1,0]
	;; [unrolled: 2-line block ×4, first 2 shown]
	v_mov_b32_e32 v68, v69
	v_mov_b32_e32 v70, v71
	;; [unrolled: 1-line block ×10, first 2 shown]
	v_pk_fma_f32 v[14:15], v[26:27], v[20:21], v[68:69] neg_lo:[0,0,1] neg_hi:[0,0,1]
	v_pk_fma_f32 v[20:21], v[24:25], v[22:23], v[70:71] neg_lo:[0,0,1] neg_hi:[0,0,1]
	v_pk_add_f32 v[0:1], v[18:19], v[32:33]
	v_pk_add_f32 v[2:3], v[16:17], v[12:13]
	;; [unrolled: 1-line block ×4, first 2 shown]
	v_pk_add_f32 v[6:7], v[16:17], v[12:13] neg_lo:[0,1] neg_hi:[0,1]
	v_mov_b32_e32 v13, v14
	v_mov_b32_e32 v17, v20
	;; [unrolled: 1-line block ×6, first 2 shown]
	v_pk_add_f32 v[4:5], v[18:19], v[32:33] neg_lo:[0,1] neg_hi:[0,1]
	v_pk_add_f32 v[26:27], v[8:9], v[10:11]
	v_pk_add_f32 v[14:15], v[20:21], v[14:15] neg_lo:[0,1] neg_hi:[0,1]
	v_pk_add_f32 v[12:13], v[12:13], v[16:17]
	v_mov_b32_e32 v25, v5
	v_mov_b32_e32 v22, v14
	v_pk_add_f32 v[16:17], v[14:15], v[6:7]
	v_mov_b32_e32 v24, v14
	v_mov_b32_e32 v14, v6
	;; [unrolled: 3-line block ×3, first 2 shown]
	v_mov_b32_e32 v18, v4
	v_mov_b32_e32 v23, v7
	;; [unrolled: 1-line block ×3, first 2 shown]
	v_pk_add_f32 v[14:15], v[24:25], v[14:15] neg_lo:[0,1] neg_hi:[0,1]
	v_pk_add_f32 v[24:25], v[12:13], v[26:27] neg_lo:[0,1] neg_hi:[0,1]
	v_mov_b32_e32 v27, v11
	v_mov_b32_e32 v12, v3
	v_pk_add_f32 v[18:19], v[18:19], v[22:23] neg_lo:[0,1] neg_hi:[0,1]
	v_pk_add_f32 v[12:13], v[26:27], v[12:13] neg_lo:[0,1] neg_hi:[0,1]
	v_pk_mul_f32 v[28:29], v[18:19], s[6:7]
	v_pk_mul_f32 v[14:15], v[14:15], s[8:9]
	;; [unrolled: 1-line block ×4, first 2 shown]
	v_mov_b32_e32 v8, v3
	v_mov_b32_e32 v10, v1
	v_pk_add_f32 v[16:17], v[16:17], v[4:5]
	v_pk_add_f32 v[22:23], v[62:63], v[20:21]
	v_pk_fma_f32 v[18:19], v[18:19], s[6:7], v[14:15]
	v_pk_fma_f32 v[24:25], v[24:25], s[18:19], v[12:13]
	v_pk_add_f32 v[4:5], v[6:7], v[4:5] neg_lo:[0,1] neg_hi:[0,1]
	v_mov_b32_e32 v6, v28
	v_mov_b32_e32 v7, v15
	v_pk_add_f32 v[0:1], v[8:9], v[10:11] neg_lo:[0,1] neg_hi:[0,1]
	v_mov_b32_e32 v2, v30
	v_mov_b32_e32 v3, v13
	;; [unrolled: 1-line block ×4, first 2 shown]
	v_pk_fma_f32 v[20:21], v[20:21], s[2:3], v[22:23] op_sel_hi:[1,0,1]
	v_pk_fma_f32 v[6:7], v[4:5], s[12:13], v[6:7] op_sel_hi:[1,0,1] neg_lo:[1,0,1] neg_hi:[1,0,1]
	v_pk_fma_f32 v[2:3], v[0:1], s[14:15], v[2:3] op_sel_hi:[1,0,1] neg_lo:[1,0,1] neg_hi:[1,0,1]
	;; [unrolled: 1-line block ×4, first 2 shown]
	v_pk_fma_f32 v[6:7], v[16:17], s[10:11], v[6:7] op_sel_hi:[1,0,1]
	v_pk_add_f32 v[2:3], v[2:3], v[20:21]
	v_pk_fma_f32 v[4:5], v[16:17], s[10:11], v[4:5] op_sel_hi:[1,0,1]
	v_pk_add_f32 v[0:1], v[0:1], v[20:21]
	;; [unrolled: 2-line block ×3, first 2 shown]
	v_pk_add_f32 v[8:9], v[2:3], v[6:7]
	v_pk_add_f32 v[2:3], v[2:3], v[6:7] neg_lo:[0,1] neg_hi:[0,1]
	v_pk_add_f32 v[10:11], v[0:1], v[4:5] neg_lo:[0,1] neg_hi:[0,1]
	v_pk_add_f32 v[0:1], v[0:1], v[4:5]
	v_pk_add_f32 v[26:27], v[24:25], v[18:19]
	v_pk_add_f32 v[18:19], v[24:25], v[18:19] neg_lo:[0,1] neg_hi:[0,1]
	v_mov_b32_e32 v6, v8
	v_mov_b32_e32 v7, v3
	;; [unrolled: 1-line block ×4, first 2 shown]
	v_add_u32_e32 v1, 0x800, v80
	v_mov_b32_e32 v24, v26
	v_mov_b32_e32 v25, v19
	ds_write2_b64 v1, v[6:7], v[4:5] offset0:96 offset1:216
	v_mov_b32_e32 v1, v11
	v_mov_b32_e32 v3, v9
	v_add_u32_e32 v4, 0x1000, v80
	v_mov_b32_e32 v19, v27
	ds_write2_b64 v80, v[22:23], v[24:25] offset0:112 offset1:232
	ds_write2_b64 v4, v[0:1], v[2:3] offset0:80 offset1:200
	ds_write_b64 v80, v[18:19] offset:6656
.LBB0_27:
	s_or_b64 exec, exec, s[20:21]
	s_waitcnt lgkmcnt(0)
	; wave barrier
	s_waitcnt lgkmcnt(0)
	ds_read_b64 v[4:5], v80
	s_add_u32 s4, s4, 0x1a30
	s_addc_u32 s5, s5, 0
	v_sub_u32_e32 v6, 0, v45
	v_cmp_ne_u32_e64 s[2:3], 0, v44
                                        ; implicit-def: $vgpr2_vgpr3
                                        ; implicit-def: $vgpr1
	s_and_saveexec_b64 s[6:7], s[2:3]
	s_xor_b64 s[2:3], exec, s[6:7]
	s_cbranch_execz .LBB0_29
; %bb.28:
	v_mov_b32_e32 v45, 0
	v_lshl_add_u64 v[0:1], v[44:45], 3, s[4:5]
	global_load_dwordx2 v[2:3], v[0:1], off
	ds_read_b64 v[0:1], v6 offset:6720
	v_mov_b32_e32 v9, 0.5
	v_mov_b32_e32 v10, v9
	s_waitcnt lgkmcnt(0)
	v_pk_add_f32 v[12:13], v[0:1], v[4:5]
	v_pk_add_f32 v[0:1], v[4:5], v[0:1] neg_lo:[0,1] neg_hi:[0,1]
	v_mov_b32_e32 v4, v13
	v_mov_b32_e32 v5, v0
	v_pk_mul_f32 v[4:5], v[4:5], 0.5 op_sel_hi:[1,0]
	s_waitcnt vmcnt(0)
	v_mov_b32_e32 v8, v3
	v_mov_b32_e32 v0, v5
	;; [unrolled: 1-line block ×4, first 2 shown]
	v_pk_mul_f32 v[0:1], v[8:9], v[0:1]
	v_pk_mul_f32 v[14:15], v[2:3], v[4:5] op_sel_hi:[0,1]
	v_pk_fma_f32 v[8:9], v[12:13], v[10:11], v[0:1]
	v_pk_fma_f32 v[10:11], v[12:13], v[10:11], v[0:1] neg_lo:[0,0,1] neg_hi:[0,0,1]
	v_add_f32_e32 v0, v14, v8
	v_sub_f32_e32 v1, v9, v15
	ds_write_b32 v80, v0
	v_pk_fma_f32 v[2:3], v[2:3], v[4:5], v[10:11] op_sel_hi:[0,1,1] neg_lo:[1,0,0] neg_hi:[1,0,0]
                                        ; implicit-def: $vgpr4_vgpr5
.LBB0_29:
	s_andn2_saveexec_b64 s[2:3], s[2:3]
	s_cbranch_execz .LBB0_31
; %bb.30:
	s_waitcnt lgkmcnt(0)
	v_mov_b32_e32 v0, v5
	v_pk_add_f32 v[0:1], v[4:5], v[0:1] neg_lo:[0,1] neg_hi:[0,1]
	v_add_f32_e32 v3, v5, v4
	v_mov_b32_e32 v1, 0
	ds_read_b32 v2, v1 offset:3364
	ds_write_b32 v80, v3
	s_waitcnt lgkmcnt(1)
	v_xor_b32_e32 v2, 0x80000000, v2
	ds_write_b32 v1, v2 offset:3364
	v_mov_b64_e32 v[2:3], v[0:1]
.LBB0_31:
	s_or_b64 exec, exec, s[2:3]
	v_mov_b32_e32 v49, 0
	s_waitcnt lgkmcnt(0)
	v_lshl_add_u64 v[4:5], v[48:49], 3, s[4:5]
	global_load_dwordx2 v[4:5], v[4:5], off
	v_mov_b32_e32 v61, v49
	v_lshl_add_u64 v[8:9], v[60:61], 3, s[4:5]
	global_load_dwordx2 v[8:9], v[8:9], off
	v_mov_b32_e32 v59, v49
	;; [unrolled: 3-line block ×4, first 2 shown]
	ds_write_b32 v80, v1 offset:4
	ds_write_b64 v6, v[2:3] offset:6720
	v_lshl_add_u64 v[20:21], v[54:55], 3, s[4:5]
	ds_read_b64 v[2:3], v86
	ds_read_b64 v[14:15], v6 offset:6272
	global_load_dwordx2 v[20:21], v[20:21], off
	v_mov_b32_e32 v1, 0.5
	v_mov_b32_e32 v16, v1
	v_mov_b32_e32 v53, v49
	s_waitcnt lgkmcnt(0)
	v_pk_add_f32 v[22:23], v[2:3], v[14:15]
	v_pk_add_f32 v[2:3], v[2:3], v[14:15] neg_lo:[0,1] neg_hi:[0,1]
	v_mov_b32_e32 v14, v23
	v_mov_b32_e32 v15, v2
	v_pk_mul_f32 v[14:15], v[14:15], 0.5 op_sel_hi:[1,0]
	v_mov_b32_e32 v18, v1
	v_mov_b32_e32 v2, v15
	;; [unrolled: 1-line block ×3, first 2 shown]
	s_waitcnt vmcnt(4)
	v_mov_b32_e32 v0, v5
	v_mov_b32_e32 v17, v5
	v_pk_mul_f32 v[2:3], v[0:1], v[2:3]
	s_waitcnt vmcnt(3)
	v_mov_b32_e32 v0, v9
	v_pk_fma_f32 v[24:25], v[22:23], v[16:17], v[2:3]
	v_pk_fma_f32 v[2:3], v[22:23], v[16:17], v[2:3] neg_lo:[0,0,1] neg_hi:[0,0,1]
	v_pk_fma_f32 v[16:17], v[4:5], v[14:15], v[24:25]
	v_pk_fma_f32 v[22:23], v[4:5], v[14:15], v[24:25] op_sel_hi:[0,1,1] neg_lo:[1,0,0] neg_hi:[1,0,0]
	v_mov_b32_e32 v17, v23
	v_pk_fma_f32 v[2:3], v[4:5], v[14:15], v[2:3] op_sel_hi:[0,1,1] neg_lo:[1,0,0] neg_hi:[1,0,0]
	ds_write_b64 v86, v[16:17]
	ds_write_b64 v6, v[2:3] offset:6272
	v_lshl_add_u64 v[14:15], v[52:53], 3, s[4:5]
	ds_read_b64 v[2:3], v85
	ds_read_b64 v[4:5], v6 offset:5824
	global_load_dwordx2 v[14:15], v[14:15], off
	v_mov_b32_e32 v19, v9
	s_waitcnt lgkmcnt(0)
	v_pk_add_f32 v[16:17], v[2:3], v[4:5]
	v_pk_add_f32 v[2:3], v[2:3], v[4:5] neg_lo:[0,1] neg_hi:[0,1]
	v_mov_b32_e32 v4, v17
	v_mov_b32_e32 v5, v2
	v_pk_mul_f32 v[4:5], v[4:5], 0.5 op_sel_hi:[1,0]
	s_nop 0
	v_mov_b32_e32 v2, v5
	v_mov_b32_e32 v17, v4
	v_pk_mul_f32 v[2:3], v[0:1], v[2:3]
	s_waitcnt vmcnt(3)
	v_mov_b32_e32 v0, v11
	v_pk_fma_f32 v[22:23], v[16:17], v[18:19], v[2:3]
	v_pk_fma_f32 v[2:3], v[16:17], v[18:19], v[2:3] neg_lo:[0,0,1] neg_hi:[0,0,1]
	v_pk_fma_f32 v[16:17], v[8:9], v[4:5], v[22:23]
	v_pk_fma_f32 v[18:19], v[8:9], v[4:5], v[22:23] op_sel_hi:[0,1,1] neg_lo:[1,0,0] neg_hi:[1,0,0]
	v_mov_b32_e32 v17, v19
	v_pk_fma_f32 v[2:3], v[8:9], v[4:5], v[2:3] op_sel_hi:[0,1,1] neg_lo:[1,0,0] neg_hi:[1,0,0]
	ds_write_b64 v85, v[16:17]
	ds_write_b64 v6, v[2:3] offset:5824
	ds_read_b64 v[2:3], v84
	ds_read_b64 v[4:5], v6 offset:5376
	v_mov_b32_e32 v8, v1
	v_mov_b32_e32 v9, v11
	s_waitcnt lgkmcnt(0)
	v_pk_add_f32 v[16:17], v[2:3], v[4:5]
	v_pk_add_f32 v[2:3], v[2:3], v[4:5] neg_lo:[0,1] neg_hi:[0,1]
	v_mov_b32_e32 v4, v17
	v_mov_b32_e32 v5, v2
	v_pk_mul_f32 v[4:5], v[4:5], 0.5 op_sel_hi:[1,0]
	s_nop 0
	v_mov_b32_e32 v2, v5
	v_mov_b32_e32 v17, v4
	v_pk_mul_f32 v[2:3], v[0:1], v[2:3]
	s_waitcnt vmcnt(2)
	v_mov_b32_e32 v0, v13
	v_pk_fma_f32 v[18:19], v[16:17], v[8:9], v[2:3]
	v_pk_fma_f32 v[2:3], v[16:17], v[8:9], v[2:3] neg_lo:[0,0,1] neg_hi:[0,0,1]
	v_pk_fma_f32 v[8:9], v[10:11], v[4:5], v[18:19]
	v_pk_fma_f32 v[16:17], v[10:11], v[4:5], v[18:19] op_sel_hi:[0,1,1] neg_lo:[1,0,0] neg_hi:[1,0,0]
	v_mov_b32_e32 v9, v17
	v_pk_fma_f32 v[2:3], v[10:11], v[4:5], v[2:3] op_sel_hi:[0,1,1] neg_lo:[1,0,0] neg_hi:[1,0,0]
	ds_write_b64 v84, v[8:9]
	ds_write_b64 v6, v[2:3] offset:5376
	ds_read_b64 v[2:3], v83
	ds_read_b64 v[4:5], v6 offset:4928
	v_mov_b32_e32 v8, v1
	;; [unrolled: 24-line block ×4, first 2 shown]
	v_mov_b32_e32 v9, v15
	s_waitcnt lgkmcnt(0)
	v_pk_add_f32 v[10:11], v[2:3], v[4:5]
	v_pk_add_f32 v[2:3], v[2:3], v[4:5] neg_lo:[0,1] neg_hi:[0,1]
	v_mov_b32_e32 v4, v11
	v_mov_b32_e32 v5, v2
	v_pk_mul_f32 v[4:5], v[4:5], 0.5 op_sel_hi:[1,0]
	s_nop 0
	v_mov_b32_e32 v2, v5
	v_mov_b32_e32 v11, v4
	v_pk_mul_f32 v[2:3], v[0:1], v[2:3]
	s_nop 0
	v_pk_fma_f32 v[12:13], v[10:11], v[8:9], v[2:3]
	v_pk_fma_f32 v[2:3], v[10:11], v[8:9], v[2:3] neg_lo:[0,0,1] neg_hi:[0,0,1]
	v_pk_fma_f32 v[8:9], v[14:15], v[4:5], v[12:13]
	v_pk_fma_f32 v[10:11], v[14:15], v[4:5], v[12:13] op_sel_hi:[0,1,1] neg_lo:[1,0,0] neg_hi:[1,0,0]
	v_mov_b32_e32 v9, v11
	v_pk_fma_f32 v[2:3], v[14:15], v[4:5], v[2:3] op_sel_hi:[0,1,1] neg_lo:[1,0,0] neg_hi:[1,0,0]
	ds_write_b64 v51, v[8:9]
	ds_write_b64 v6, v[2:3] offset:4032
	s_and_saveexec_b64 s[2:3], vcc
	s_cbranch_execz .LBB0_33
; %bb.32:
	v_mov_b32_e32 v51, v49
	v_lshl_add_u64 v[2:3], v[50:51], 3, s[4:5]
	global_load_dwordx2 v[2:3], v[2:3], off
	ds_read_b64 v[4:5], v81
	ds_read_b64 v[8:9], v6 offset:3584
	v_mov_b32_e32 v10, v1
	s_waitcnt lgkmcnt(0)
	v_pk_add_f32 v[12:13], v[4:5], v[8:9]
	v_pk_add_f32 v[4:5], v[4:5], v[8:9] neg_lo:[0,1] neg_hi:[0,1]
	v_mov_b32_e32 v8, v13
	v_mov_b32_e32 v9, v4
	v_pk_mul_f32 v[8:9], v[8:9], 0.5 op_sel_hi:[1,0]
	s_waitcnt vmcnt(0)
	v_mov_b32_e32 v0, v3
	v_mov_b32_e32 v4, v9
	;; [unrolled: 1-line block ×4, first 2 shown]
	v_pk_mul_f32 v[0:1], v[0:1], v[4:5]
	s_nop 0
	v_pk_fma_f32 v[4:5], v[12:13], v[10:11], v[0:1]
	v_pk_fma_f32 v[0:1], v[12:13], v[10:11], v[0:1] neg_lo:[0,0,1] neg_hi:[0,0,1]
	v_pk_fma_f32 v[10:11], v[2:3], v[8:9], v[4:5]
	v_pk_fma_f32 v[4:5], v[2:3], v[8:9], v[4:5] op_sel_hi:[0,1,1] neg_lo:[1,0,0] neg_hi:[1,0,0]
	v_mov_b32_e32 v11, v5
	v_pk_fma_f32 v[0:1], v[2:3], v[8:9], v[0:1] op_sel_hi:[0,1,1] neg_lo:[1,0,0] neg_hi:[1,0,0]
	ds_write_b64 v81, v[10:11]
	ds_write_b64 v6, v[0:1] offset:3584
.LBB0_33:
	s_or_b64 exec, exec, s[2:3]
	s_waitcnt lgkmcnt(0)
	; wave barrier
	s_waitcnt lgkmcnt(0)
	s_and_saveexec_b64 s[2:3], s[0:1]
	s_cbranch_execz .LBB0_36
; %bb.34:
	ds_read2_b64 v[0:3], v80 offset1:56
	ds_read2_b64 v[4:7], v80 offset0:112 offset1:168
	v_mov_b32_e32 v45, 0
	v_lshl_add_u64 v[12:13], v[44:45], 3, v[46:47]
	s_movk_i32 s0, 0x1000
	s_waitcnt lgkmcnt(1)
	global_store_dwordx2 v[12:13], v[0:1], off
	global_store_dwordx2 v[12:13], v[2:3], off offset:448
	s_waitcnt lgkmcnt(0)
	global_store_dwordx2 v[12:13], v[4:5], off offset:896
	v_add_u32_e32 v0, 0x400, v80
	ds_read2_b64 v[0:3], v0 offset0:96 offset1:152
	v_add_u32_e32 v4, 0x800, v80
	ds_read2_b64 v[8:11], v4 offset0:80 offset1:136
	global_store_dwordx2 v[12:13], v[6:7], off offset:1344
	ds_read2_b64 v[4:7], v4 offset0:192 offset1:248
	s_waitcnt lgkmcnt(2)
	global_store_dwordx2 v[12:13], v[0:1], off offset:1792
	global_store_dwordx2 v[12:13], v[2:3], off offset:2240
	s_waitcnt lgkmcnt(1)
	global_store_dwordx2 v[12:13], v[8:9], off offset:2688
	global_store_dwordx2 v[12:13], v[10:11], off offset:3136
	s_waitcnt lgkmcnt(0)
	global_store_dwordx2 v[12:13], v[4:5], off offset:3584
	global_store_dwordx2 v[12:13], v[6:7], off offset:4032
	v_add_u32_e32 v4, 0x1000, v80
	ds_read2_b64 v[0:3], v4 offset0:48 offset1:104
	v_add_co_u32_e32 v8, vcc, s0, v12
	ds_read2_b64 v[4:7], v4 offset0:160 offset1:216
	s_nop 0
	v_addc_co_u32_e32 v9, vcc, 0, v13, vcc
	ds_read_b64 v[10:11], v80 offset:6272
	v_cmp_eq_u32_e32 vcc, 55, v44
	s_waitcnt lgkmcnt(2)
	global_store_dwordx2 v[8:9], v[0:1], off offset:384
	global_store_dwordx2 v[8:9], v[2:3], off offset:832
	s_waitcnt lgkmcnt(1)
	global_store_dwordx2 v[8:9], v[4:5], off offset:1280
	global_store_dwordx2 v[8:9], v[6:7], off offset:1728
	s_waitcnt lgkmcnt(0)
	global_store_dwordx2 v[8:9], v[10:11], off offset:2176
	s_and_b64 exec, exec, vcc
	s_cbranch_execz .LBB0_36
; %bb.35:
	ds_read_b64 v[0:1], v45 offset:6720
	v_add_co_u32_e32 v2, vcc, 0x1000, v46
	s_nop 1
	v_addc_co_u32_e32 v3, vcc, 0, v47, vcc
	s_waitcnt lgkmcnt(0)
	global_store_dwordx2 v[2:3], v[0:1], off offset:2624
.LBB0_36:
	s_endpgm
	.section	.rodata,"a",@progbits
	.p2align	6, 0x0
	.amdhsa_kernel fft_rtc_back_len840_factors_2_2_2_3_5_7_wgs_56_tpt_56_halfLds_sp_ip_CI_unitstride_sbrr_R2C_dirReg
		.amdhsa_group_segment_fixed_size 0
		.amdhsa_private_segment_fixed_size 0
		.amdhsa_kernarg_size 88
		.amdhsa_user_sgpr_count 2
		.amdhsa_user_sgpr_dispatch_ptr 0
		.amdhsa_user_sgpr_queue_ptr 0
		.amdhsa_user_sgpr_kernarg_segment_ptr 1
		.amdhsa_user_sgpr_dispatch_id 0
		.amdhsa_user_sgpr_kernarg_preload_length 0
		.amdhsa_user_sgpr_kernarg_preload_offset 0
		.amdhsa_user_sgpr_private_segment_size 0
		.amdhsa_uses_dynamic_stack 0
		.amdhsa_enable_private_segment 0
		.amdhsa_system_sgpr_workgroup_id_x 1
		.amdhsa_system_sgpr_workgroup_id_y 0
		.amdhsa_system_sgpr_workgroup_id_z 0
		.amdhsa_system_sgpr_workgroup_info 0
		.amdhsa_system_vgpr_workitem_id 0
		.amdhsa_next_free_vgpr 120
		.amdhsa_next_free_sgpr 22
		.amdhsa_accum_offset 120
		.amdhsa_reserve_vcc 1
		.amdhsa_float_round_mode_32 0
		.amdhsa_float_round_mode_16_64 0
		.amdhsa_float_denorm_mode_32 3
		.amdhsa_float_denorm_mode_16_64 3
		.amdhsa_dx10_clamp 1
		.amdhsa_ieee_mode 1
		.amdhsa_fp16_overflow 0
		.amdhsa_tg_split 0
		.amdhsa_exception_fp_ieee_invalid_op 0
		.amdhsa_exception_fp_denorm_src 0
		.amdhsa_exception_fp_ieee_div_zero 0
		.amdhsa_exception_fp_ieee_overflow 0
		.amdhsa_exception_fp_ieee_underflow 0
		.amdhsa_exception_fp_ieee_inexact 0
		.amdhsa_exception_int_div_zero 0
	.end_amdhsa_kernel
	.text
.Lfunc_end0:
	.size	fft_rtc_back_len840_factors_2_2_2_3_5_7_wgs_56_tpt_56_halfLds_sp_ip_CI_unitstride_sbrr_R2C_dirReg, .Lfunc_end0-fft_rtc_back_len840_factors_2_2_2_3_5_7_wgs_56_tpt_56_halfLds_sp_ip_CI_unitstride_sbrr_R2C_dirReg
                                        ; -- End function
	.section	.AMDGPU.csdata,"",@progbits
; Kernel info:
; codeLenInByte = 10816
; NumSgprs: 28
; NumVgprs: 120
; NumAgprs: 0
; TotalNumVgprs: 120
; ScratchSize: 0
; MemoryBound: 0
; FloatMode: 240
; IeeeMode: 1
; LDSByteSize: 0 bytes/workgroup (compile time only)
; SGPRBlocks: 3
; VGPRBlocks: 14
; NumSGPRsForWavesPerEU: 28
; NumVGPRsForWavesPerEU: 120
; AccumOffset: 120
; Occupancy: 4
; WaveLimiterHint : 1
; COMPUTE_PGM_RSRC2:SCRATCH_EN: 0
; COMPUTE_PGM_RSRC2:USER_SGPR: 2
; COMPUTE_PGM_RSRC2:TRAP_HANDLER: 0
; COMPUTE_PGM_RSRC2:TGID_X_EN: 1
; COMPUTE_PGM_RSRC2:TGID_Y_EN: 0
; COMPUTE_PGM_RSRC2:TGID_Z_EN: 0
; COMPUTE_PGM_RSRC2:TIDIG_COMP_CNT: 0
; COMPUTE_PGM_RSRC3_GFX90A:ACCUM_OFFSET: 29
; COMPUTE_PGM_RSRC3_GFX90A:TG_SPLIT: 0
	.text
	.p2alignl 6, 3212836864
	.fill 256, 4, 3212836864
	.type	__hip_cuid_d0817e5685c3003b,@object ; @__hip_cuid_d0817e5685c3003b
	.section	.bss,"aw",@nobits
	.globl	__hip_cuid_d0817e5685c3003b
__hip_cuid_d0817e5685c3003b:
	.byte	0                               ; 0x0
	.size	__hip_cuid_d0817e5685c3003b, 1

	.ident	"AMD clang version 19.0.0git (https://github.com/RadeonOpenCompute/llvm-project roc-6.4.0 25133 c7fe45cf4b819c5991fe208aaa96edf142730f1d)"
	.section	".note.GNU-stack","",@progbits
	.addrsig
	.addrsig_sym __hip_cuid_d0817e5685c3003b
	.amdgpu_metadata
---
amdhsa.kernels:
  - .agpr_count:     0
    .args:
      - .actual_access:  read_only
        .address_space:  global
        .offset:         0
        .size:           8
        .value_kind:     global_buffer
      - .offset:         8
        .size:           8
        .value_kind:     by_value
      - .actual_access:  read_only
        .address_space:  global
        .offset:         16
        .size:           8
        .value_kind:     global_buffer
      - .actual_access:  read_only
        .address_space:  global
        .offset:         24
        .size:           8
        .value_kind:     global_buffer
      - .offset:         32
        .size:           8
        .value_kind:     by_value
      - .actual_access:  read_only
        .address_space:  global
        .offset:         40
        .size:           8
        .value_kind:     global_buffer
      - .actual_access:  read_only
        .address_space:  global
        .offset:         48
        .size:           8
        .value_kind:     global_buffer
      - .offset:         56
        .size:           4
        .value_kind:     by_value
      - .actual_access:  read_only
        .address_space:  global
        .offset:         64
        .size:           8
        .value_kind:     global_buffer
      - .actual_access:  read_only
        .address_space:  global
        .offset:         72
        .size:           8
        .value_kind:     global_buffer
      - .address_space:  global
        .offset:         80
        .size:           8
        .value_kind:     global_buffer
    .group_segment_fixed_size: 0
    .kernarg_segment_align: 8
    .kernarg_segment_size: 88
    .language:       OpenCL C
    .language_version:
      - 2
      - 0
    .max_flat_workgroup_size: 56
    .name:           fft_rtc_back_len840_factors_2_2_2_3_5_7_wgs_56_tpt_56_halfLds_sp_ip_CI_unitstride_sbrr_R2C_dirReg
    .private_segment_fixed_size: 0
    .sgpr_count:     28
    .sgpr_spill_count: 0
    .symbol:         fft_rtc_back_len840_factors_2_2_2_3_5_7_wgs_56_tpt_56_halfLds_sp_ip_CI_unitstride_sbrr_R2C_dirReg.kd
    .uniform_work_group_size: 1
    .uses_dynamic_stack: false
    .vgpr_count:     120
    .vgpr_spill_count: 0
    .wavefront_size: 64
amdhsa.target:   amdgcn-amd-amdhsa--gfx950
amdhsa.version:
  - 1
  - 2
...

	.end_amdgpu_metadata
